;; amdgpu-corpus repo=ROCm/aiter kind=harvested arch=n/a opt=n/a

/root/src/amdgpu-assembly/repos/ROCm__aiter/hsa/gfx942/fmoe_2stages/fmoe_stage1_bf16_pertokenFp8_blockscale_g1u1_80x256_pf2.co:	file format elf64-amdgpu

Disassembly of section .text:

0000000000002a00 <_ZN5aiter55fmoe_stage1_bf16_pertokenFp8_blockscale_g1u1_80x256_pf2E>:
	s_and_b32 s1, s1, 0xffff                                   // 000000002A00: 8601FF01 0000FFFF
	s_load_dwordx2 s[8:9], s[0:1], 0x0                         // 000000002A08: C0060200 00000000
	s_load_dwordx2 s[20:21], s[0:1], 0x10                      // 000000002A10: C0060500 00000010
	s_load_dwordx2 s[24:25], s[0:1], 0x20                      // 000000002A18: C0060600 00000020
	s_load_dwordx2 s[48:49], s[0:1], 0x30                      // 000000002A20: C0060C00 00000030
	s_load_dwordx2 s[28:29], s[0:1], 0x40                      // 000000002A28: C0060700 00000040
	s_load_dwordx2 s[32:33], s[0:1], 0x50                      // 000000002A30: C0060800 00000050
	s_load_dwordx2 s[36:37], s[0:1], 0x60                      // 000000002A38: C0060900 00000060
	s_load_dwordx2 s[12:13], s[0:1], 0x70                      // 000000002A40: C0060300 00000070
	s_load_dwordx2 s[44:45], s[0:1], 0x80                      // 000000002A48: C0060B00 00000080
	s_mov_b32 s89, 0                                           // 000000002A50: BED90080
	s_load_dword s64, s[0:1], 0x90                             // 000000002A54: C0021000 00000090
	s_load_dword s65, s[0:1], 0xa0                             // 000000002A5C: C0021040 000000A0
	s_load_dword s66, s[0:1], 0xb0                             // 000000002A64: C0021080 000000B0
	s_load_dword s67, s[0:1], 0xc0                             // 000000002A6C: C00210C0 000000C0
	s_load_dword s68, s[0:1], 0xd0                             // 000000002A74: C0021100 000000D0
	s_load_dword s69, s[0:1], 0xe0                             // 000000002A7C: C0021140 000000E0
	s_load_dword s71, s[0:1], 0xf0                             // 000000002A84: C00211C0 000000F0
	s_load_dword s72, s[0:1], 0x100                            // 000000002A8C: C0021200 00000100
	s_load_dword s74, s[0:1], 0x110                            // 000000002A94: C0021280 00000110
	s_load_dword s76, s[0:1], 0x120                            // 000000002A9C: C0021300 00000120
	s_load_dword s56, s[0:1], 0x130                            // 000000002AA4: C0020E00 00000130
	s_load_dword s88, s[0:1], 0x140                            // 000000002AAC: C0021600 00000140
	s_load_dword s89, s[0:1], 0x150                            // 000000002AB4: C0021640 00000150
	v_lshrrev_b32_e32 v1, 10, v0                               // 000000002ABC: 2002008A
	v_lshrrev_b32_e32 v2, 10, v1                               // 000000002AC0: 2004028A
	v_and_b32_e32 v2, 0x3ff, v2                                // 000000002AC4: 260404FF 000003FF
	v_and_b32_e32 v1, 0x3ff, v1                                // 000000002ACC: 260202FF 000003FF
	v_and_b32_e32 v0, 0x3ff, v0                                // 000000002AD4: 260000FF 000003FF
	v_lshrrev_b32_e32 v3, 6, v0                                // 000000002ADC: 20060086
	v_and_b32_e32 v0, 63, v0                                   // 000000002AE0: 260000BF
	s_mov_b32 s2, s2                                           // 000000002AE4: BE820002
	s_mov_b32 s3, s3                                           // 000000002AE8: BE830003
	s_mov_b32 s4, s4                                           // 000000002AEC: BE840004
	v_readfirstlane_b32 s7, v3                                 // 000000002AF0: 7E0E0503
	s_waitcnt lgkmcnt(0)                                       // 000000002AF4: BF8CC07F
	s_and_b32 s49, s49, 0xffff                                 // 000000002AF8: 8631FF31 0000FFFF
	s_load_dword s48, s[48:49], 0x0                            // 000000002B00: C0020C18 00000000
	s_and_b32 s45, s45, 0xffff                                 // 000000002B08: 862DFF2D 0000FFFF
	s_and_b32 s9, s9, 0xffff                                   // 000000002B10: 8609FF09 0000FFFF
	s_mul_i32 s60, s66, s68                                    // 000000002B18: 923C4442
	s_mul_i32 s61, s66, 4                                      // 000000002B1C: 923D8442
	s_mov_b32 s22, s60                                         // 000000002B20: BE96003C
	s_mov_b32 s26, -16                                         // 000000002B24: BE9A00D0
	s_mov_b32 s30, s61                                         // 000000002B28: BE9E003D
	s_mov_b32 s14, 0x140                                       // 000000002B2C: BE8E00FF 00000140
	s_mov_b32 s38, -16                                         // 000000002B34: BEA600D0
	s_mov_b32 s10, -16                                         // 000000002B38: BE8A00D0
	s_lshr_b32 s60, s64, 7                                     // 000000002B3C: 8F3C8740
	s_mul_i32 s61, s60, 4                                      // 000000002B40: 923D843C
	s_lshr_b32 s60, s65, 7                                     // 000000002B44: 8F3C8741
	s_add_u32 s60, s60, 2                                      // 000000002B48: 803C823C
	s_mul_i32 s60, s60, s61                                    // 000000002B4C: 923C3D3C
	s_mov_b32 s34, s60                                         // 000000002B50: BEA2003C
	s_mov_b32 s23, 0x20000                                     // 000000002B54: BE9700FF 00020000
	s_mov_b32 s27, 0x20000                                     // 000000002B5C: BE9B00FF 00020000
	s_mov_b32 s31, 0x20000                                     // 000000002B64: BE9F00FF 00020000
	s_mov_b32 s35, 0x20000                                     // 000000002B6C: BEA300FF 00020000
	s_mov_b32 s15, 0x20000                                     // 000000002B74: BE8F00FF 00020000
	s_mov_b32 s39, 0x20000                                     // 000000002B7C: BEA700FF 00020000
	s_mov_b32 s11, 0x20000                                     // 000000002B84: BE8B00FF 00020000
	s_and_b32 s21, s21, 0xffff                                 // 000000002B8C: 8615FF15 0000FFFF
	s_and_b32 s25, s25, 0xffff                                 // 000000002B94: 8619FF19 0000FFFF
	s_and_b32 s29, s29, 0xffff                                 // 000000002B9C: 861DFF1D 0000FFFF
	s_and_b32 s33, s33, 0xffff                                 // 000000002BA4: 8621FF21 0000FFFF
	s_and_b32 s13, s13, 0xffff                                 // 000000002BAC: 860DFF0D 0000FFFF
	s_and_b32 s37, s37, 0xffff                                 // 000000002BB4: 8625FF25 0000FFFF
	s_or_b32 s21, s21, 0x40000                                 // 000000002BBC: 8715FF15 00040000
	s_or_b32 s25, s25, 0x40000                                 // 000000002BC4: 8719FF19 00040000
	s_or_b32 s29, s29, 0x40000                                 // 000000002BCC: 871DFF1D 00040000
	s_or_b32 s33, s33, 0x40000                                 // 000000002BD4: 8721FF21 00040000
	s_or_b32 s13, s13, 0x40000                                 // 000000002BDC: 870DFF0D 00040000
	s_or_b32 s37, s37, 0x40000                                 // 000000002BE4: 8725FF25 00040000
	v_accvgpr_write_b32 a143, 0                                // 000000002BEC: D3D9408F 18000080
	v_mov_b32_e32 v223, 0                                      // 000000002BF4: 7FBE0280
	s_waitcnt lgkmcnt(0)                                       // 000000002BF8: BF8CC07F
	s_mul_i32 s60, s3, 0x50                                    // 000000002BFC: 923CFF03 00000050
	s_cmp_lt_i32 s60, s48                                      // 000000002C04: BF04303C
	s_cbranch_scc0 label_34C4                                  // 000000002C08: BF84343E
	s_mov_b32 s80, 0                                           // 000000002C0C: BED00080
	s_lshr_b32 s81, s64, s88                                   // 000000002C10: 8F515840
	s_mul_i32 s60, s3, 4                                       // 000000002C14: 923C8403
	s_add_u32 s44, s60, s44                                    // 000000002C18: 802C2C3C
	s_addc_u32 s45, 0, s45                                     // 000000002C1C: 822D2D80
	s_load_dword s5, s[44:45], 0x0                             // 000000002C20: C0020156 00000000
	s_mul_i32 s60, s3, 0x50                                    // 000000002C28: 923CFF03 00000050
	s_mul_i32 s60, 4, s60                                      // 000000002C30: 923C3C84
	s_add_u32 s12, s60, s12                                    // 000000002C34: 800C0C3C
	s_addc_u32 s13, 0, s13                                     // 000000002C38: 820D0D80
	v_and_b32_e32 v4, 15, v0                                   // 000000002C3C: 2608008F
	v_lshlrev_b32_e32 v4, 2, v4                                // 000000002C40: 24080882
	buffer_load_dword v28, v4, s[12:15], 0 offen               // 000000002C44: E0501000 80031C04
	v_add_u32_e32 v4, 64, v4                                   // 000000002C4C: 680808C0
	buffer_load_dword v29, v4, s[12:15], 0 offen               // 000000002C50: E0501000 80031D04
	v_add_u32_e32 v4, 64, v4                                   // 000000002C58: 680808C0
	buffer_load_dword v30, v4, s[12:15], 0 offen               // 000000002C5C: E0501000 80031E04
	v_add_u32_e32 v4, 64, v4                                   // 000000002C64: 680808C0
	buffer_load_dword v31, v4, s[12:15], 0 offen               // 000000002C68: E0501000 80031F04
	v_add_u32_e32 v4, 64, v4                                   // 000000002C70: 680808C0
	buffer_load_dword v32, v4, s[12:15], 0 offen               // 000000002C74: E0501000 80032004
	v_add_u32_e32 v4, 64, v4                                   // 000000002C7C: 680808C0
	s_mul_i32 s60, 4, s7                                       // 000000002C80: 923C0784
	v_lshlrev_b32_e32 v4, 4, v0                                // 000000002C84: 24080084
	v_add_u32_e32 v4, s60, v4                                  // 000000002C88: 6808083C
	buffer_load_dword v3, v4, s[12:15], 0 offen                // 000000002C8C: E0501000 80030304
	v_mov_b32_e32 v64, 0                                       // 000000002C94: 7E800280
	v_mov_b32_e32 v144, 0                                      // 000000002C98: 7F200280
	v_mov_b32_e32 v65, 0                                       // 000000002C9C: 7E820280
	v_mov_b32_e32 v145, 0                                      // 000000002CA0: 7F220280
	v_mov_b32_e32 v66, 0                                       // 000000002CA4: 7E840280
	v_mov_b32_e32 v146, 0                                      // 000000002CA8: 7F240280
	v_mov_b32_e32 v67, 0                                       // 000000002CAC: 7E860280
	v_mov_b32_e32 v147, 0                                      // 000000002CB0: 7F260280
	v_mov_b32_e32 v68, 0                                       // 000000002CB4: 7E880280
	v_mov_b32_e32 v148, 0                                      // 000000002CB8: 7F280280
	v_mov_b32_e32 v69, 0                                       // 000000002CBC: 7E8A0280
	v_mov_b32_e32 v149, 0                                      // 000000002CC0: 7F2A0280
	v_mov_b32_e32 v70, 0                                       // 000000002CC4: 7E8C0280
	v_mov_b32_e32 v150, 0                                      // 000000002CC8: 7F2C0280
	v_mov_b32_e32 v71, 0                                       // 000000002CCC: 7E8E0280
	v_mov_b32_e32 v151, 0                                      // 000000002CD0: 7F2E0280
	v_mov_b32_e32 v72, 0                                       // 000000002CD4: 7E900280
	v_mov_b32_e32 v152, 0                                      // 000000002CD8: 7F300280
	v_mov_b32_e32 v73, 0                                       // 000000002CDC: 7E920280
	v_mov_b32_e32 v153, 0                                      // 000000002CE0: 7F320280
	v_mov_b32_e32 v74, 0                                       // 000000002CE4: 7E940280
	v_mov_b32_e32 v154, 0                                      // 000000002CE8: 7F340280
	v_mov_b32_e32 v75, 0                                       // 000000002CEC: 7E960280
	v_mov_b32_e32 v155, 0                                      // 000000002CF0: 7F360280
	v_mov_b32_e32 v76, 0                                       // 000000002CF4: 7E980280
	v_mov_b32_e32 v156, 0                                      // 000000002CF8: 7F380280
	v_mov_b32_e32 v77, 0                                       // 000000002CFC: 7E9A0280
	v_mov_b32_e32 v157, 0                                      // 000000002D00: 7F3A0280
	v_mov_b32_e32 v78, 0                                       // 000000002D04: 7E9C0280
	v_mov_b32_e32 v158, 0                                      // 000000002D08: 7F3C0280
	v_mov_b32_e32 v79, 0                                       // 000000002D0C: 7E9E0280
	v_mov_b32_e32 v159, 0                                      // 000000002D10: 7F3E0280
	v_mov_b32_e32 v80, 0                                       // 000000002D14: 7EA00280
	v_mov_b32_e32 v160, 0                                      // 000000002D18: 7F400280
	v_mov_b32_e32 v81, 0                                       // 000000002D1C: 7EA20280
	v_mov_b32_e32 v161, 0                                      // 000000002D20: 7F420280
	v_mov_b32_e32 v82, 0                                       // 000000002D24: 7EA40280
	v_mov_b32_e32 v162, 0                                      // 000000002D28: 7F440280
	v_mov_b32_e32 v83, 0                                       // 000000002D2C: 7EA60280
	v_mov_b32_e32 v163, 0                                      // 000000002D30: 7F460280
	v_mov_b32_e32 v84, 0                                       // 000000002D34: 7EA80280
	v_mov_b32_e32 v164, 0                                      // 000000002D38: 7F480280
	v_mov_b32_e32 v85, 0                                       // 000000002D3C: 7EAA0280
	v_mov_b32_e32 v165, 0                                      // 000000002D40: 7F4A0280
	v_mov_b32_e32 v86, 0                                       // 000000002D44: 7EAC0280
	v_mov_b32_e32 v166, 0                                      // 000000002D48: 7F4C0280
	v_mov_b32_e32 v87, 0                                       // 000000002D4C: 7EAE0280
	v_mov_b32_e32 v167, 0                                      // 000000002D50: 7F4E0280
	v_mov_b32_e32 v88, 0                                       // 000000002D54: 7EB00280
	v_mov_b32_e32 v168, 0                                      // 000000002D58: 7F500280
	v_mov_b32_e32 v89, 0                                       // 000000002D5C: 7EB20280
	v_mov_b32_e32 v169, 0                                      // 000000002D60: 7F520280
	v_mov_b32_e32 v90, 0                                       // 000000002D64: 7EB40280
	v_mov_b32_e32 v170, 0                                      // 000000002D68: 7F540280
	v_mov_b32_e32 v91, 0                                       // 000000002D6C: 7EB60280
	v_mov_b32_e32 v171, 0                                      // 000000002D70: 7F560280
	v_mov_b32_e32 v92, 0                                       // 000000002D74: 7EB80280
	v_mov_b32_e32 v172, 0                                      // 000000002D78: 7F580280
	v_mov_b32_e32 v93, 0                                       // 000000002D7C: 7EBA0280
	v_mov_b32_e32 v173, 0                                      // 000000002D80: 7F5A0280
	v_mov_b32_e32 v94, 0                                       // 000000002D84: 7EBC0280
	v_mov_b32_e32 v174, 0                                      // 000000002D88: 7F5C0280
	v_mov_b32_e32 v95, 0                                       // 000000002D8C: 7EBE0280
	v_mov_b32_e32 v175, 0                                      // 000000002D90: 7F5E0280
	v_mov_b32_e32 v96, 0                                       // 000000002D94: 7EC00280
	v_mov_b32_e32 v176, 0                                      // 000000002D98: 7F600280
	v_mov_b32_e32 v97, 0                                       // 000000002D9C: 7EC20280
	v_mov_b32_e32 v177, 0                                      // 000000002DA0: 7F620280
	v_mov_b32_e32 v98, 0                                       // 000000002DA4: 7EC40280
	v_mov_b32_e32 v178, 0                                      // 000000002DA8: 7F640280
	v_mov_b32_e32 v99, 0                                       // 000000002DAC: 7EC60280
	v_mov_b32_e32 v179, 0                                      // 000000002DB0: 7F660280
	v_mov_b32_e32 v100, 0                                      // 000000002DB4: 7EC80280
	v_mov_b32_e32 v180, 0                                      // 000000002DB8: 7F680280
	v_mov_b32_e32 v101, 0                                      // 000000002DBC: 7ECA0280
	v_mov_b32_e32 v181, 0                                      // 000000002DC0: 7F6A0280
	v_mov_b32_e32 v102, 0                                      // 000000002DC4: 7ECC0280
	v_mov_b32_e32 v182, 0                                      // 000000002DC8: 7F6C0280
	v_mov_b32_e32 v103, 0                                      // 000000002DCC: 7ECE0280
	v_mov_b32_e32 v183, 0                                      // 000000002DD0: 7F6E0280
	v_mov_b32_e32 v104, 0                                      // 000000002DD4: 7ED00280
	v_mov_b32_e32 v184, 0                                      // 000000002DD8: 7F700280
	v_mov_b32_e32 v105, 0                                      // 000000002DDC: 7ED20280
	v_mov_b32_e32 v185, 0                                      // 000000002DE0: 7F720280
	v_mov_b32_e32 v106, 0                                      // 000000002DE4: 7ED40280
	v_mov_b32_e32 v186, 0                                      // 000000002DE8: 7F740280
	v_mov_b32_e32 v107, 0                                      // 000000002DEC: 7ED60280
	v_mov_b32_e32 v187, 0                                      // 000000002DF0: 7F760280
	v_mov_b32_e32 v108, 0                                      // 000000002DF4: 7ED80280
	v_mov_b32_e32 v188, 0                                      // 000000002DF8: 7F780280
	v_mov_b32_e32 v109, 0                                      // 000000002DFC: 7EDA0280
	v_mov_b32_e32 v189, 0                                      // 000000002E00: 7F7A0280
	v_mov_b32_e32 v110, 0                                      // 000000002E04: 7EDC0280
	v_mov_b32_e32 v190, 0                                      // 000000002E08: 7F7C0280
	v_mov_b32_e32 v111, 0                                      // 000000002E0C: 7EDE0280
	v_mov_b32_e32 v191, 0                                      // 000000002E10: 7F7E0280
	v_mov_b32_e32 v112, 0                                      // 000000002E14: 7EE00280
	v_mov_b32_e32 v192, 0                                      // 000000002E18: 7F800280
	v_mov_b32_e32 v113, 0                                      // 000000002E1C: 7EE20280
	v_mov_b32_e32 v193, 0                                      // 000000002E20: 7F820280
	v_mov_b32_e32 v114, 0                                      // 000000002E24: 7EE40280
	v_mov_b32_e32 v194, 0                                      // 000000002E28: 7F840280
	v_mov_b32_e32 v115, 0                                      // 000000002E2C: 7EE60280
	v_mov_b32_e32 v195, 0                                      // 000000002E30: 7F860280
	v_mov_b32_e32 v116, 0                                      // 000000002E34: 7EE80280
	v_mov_b32_e32 v196, 0                                      // 000000002E38: 7F880280
	v_mov_b32_e32 v117, 0                                      // 000000002E3C: 7EEA0280
	v_mov_b32_e32 v197, 0                                      // 000000002E40: 7F8A0280
	v_mov_b32_e32 v118, 0                                      // 000000002E44: 7EEC0280
	v_mov_b32_e32 v198, 0                                      // 000000002E48: 7F8C0280
	v_mov_b32_e32 v119, 0                                      // 000000002E4C: 7EEE0280
	v_mov_b32_e32 v199, 0                                      // 000000002E50: 7F8E0280
	v_mov_b32_e32 v120, 0                                      // 000000002E54: 7EF00280
	v_mov_b32_e32 v200, 0                                      // 000000002E58: 7F900280
	v_mov_b32_e32 v121, 0                                      // 000000002E5C: 7EF20280
	v_mov_b32_e32 v201, 0                                      // 000000002E60: 7F920280
	v_mov_b32_e32 v122, 0                                      // 000000002E64: 7EF40280
	v_mov_b32_e32 v202, 0                                      // 000000002E68: 7F940280
	v_mov_b32_e32 v123, 0                                      // 000000002E6C: 7EF60280
	v_mov_b32_e32 v203, 0                                      // 000000002E70: 7F960280
	v_mov_b32_e32 v124, 0                                      // 000000002E74: 7EF80280
	v_mov_b32_e32 v204, 0                                      // 000000002E78: 7F980280
	v_mov_b32_e32 v125, 0                                      // 000000002E7C: 7EFA0280
	v_mov_b32_e32 v205, 0                                      // 000000002E80: 7F9A0280
	v_mov_b32_e32 v126, 0                                      // 000000002E84: 7EFC0280
	v_mov_b32_e32 v206, 0                                      // 000000002E88: 7F9C0280
	v_mov_b32_e32 v127, 0                                      // 000000002E8C: 7EFE0280
	v_mov_b32_e32 v207, 0                                      // 000000002E90: 7F9E0280
	v_mov_b32_e32 v128, 0                                      // 000000002E94: 7F000280
	v_mov_b32_e32 v208, 0                                      // 000000002E98: 7FA00280
	v_mov_b32_e32 v129, 0                                      // 000000002E9C: 7F020280
	v_mov_b32_e32 v209, 0                                      // 000000002EA0: 7FA20280
	v_mov_b32_e32 v130, 0                                      // 000000002EA4: 7F040280
	v_mov_b32_e32 v210, 0                                      // 000000002EA8: 7FA40280
	v_mov_b32_e32 v131, 0                                      // 000000002EAC: 7F060280
	v_mov_b32_e32 v211, 0                                      // 000000002EB0: 7FA60280
	v_mov_b32_e32 v132, 0                                      // 000000002EB4: 7F080280
	v_mov_b32_e32 v212, 0                                      // 000000002EB8: 7FA80280
	v_mov_b32_e32 v133, 0                                      // 000000002EBC: 7F0A0280
	v_mov_b32_e32 v213, 0                                      // 000000002EC0: 7FAA0280
	v_mov_b32_e32 v134, 0                                      // 000000002EC4: 7F0C0280
	v_mov_b32_e32 v214, 0                                      // 000000002EC8: 7FAC0280
	v_mov_b32_e32 v135, 0                                      // 000000002ECC: 7F0E0280
	v_mov_b32_e32 v215, 0                                      // 000000002ED0: 7FAE0280
	v_mov_b32_e32 v136, 0                                      // 000000002ED4: 7F100280
	v_mov_b32_e32 v216, 0                                      // 000000002ED8: 7FB00280
	v_mov_b32_e32 v137, 0                                      // 000000002EDC: 7F120280
	v_mov_b32_e32 v217, 0                                      // 000000002EE0: 7FB20280
	v_mov_b32_e32 v138, 0                                      // 000000002EE4: 7F140280
	v_mov_b32_e32 v218, 0                                      // 000000002EE8: 7FB40280
	v_mov_b32_e32 v139, 0                                      // 000000002EEC: 7F160280
	v_mov_b32_e32 v219, 0                                      // 000000002EF0: 7FB60280
	v_mov_b32_e32 v140, 0                                      // 000000002EF4: 7F180280
	v_mov_b32_e32 v220, 0                                      // 000000002EF8: 7FB80280
	v_mov_b32_e32 v141, 0                                      // 000000002EFC: 7F1A0280
	v_mov_b32_e32 v221, 0                                      // 000000002F00: 7FBA0280
	v_mov_b32_e32 v142, 0                                      // 000000002F04: 7F1C0280
	v_mov_b32_e32 v222, 0                                      // 000000002F08: 7FBC0280
	v_mov_b32_e32 v143, 0                                      // 000000002F0C: 7F1E0280
	v_mov_b32_e32 v223, 0                                      // 000000002F10: 7FBE0280
	s_mul_i32 s60, s2, 0x100                                   // 000000002F14: 923CFF02 00000100
	s_cmp_eq_u32 s88, 0                                        // 000000002F1C: BF068058
	s_cselect_b32 s61, 1, 4                                    // 000000002F20: 853D8481
	s_mul_i32 s60, s60, s61                                    // 000000002F24: 923C3D3C
	s_mov_b32 s90, s8                                          // 000000002F28: BEDA0008
	s_mov_b32 s91, s9                                          // 000000002F2C: BEDB0009
	s_add_u32 s8, s60, s8                                      // 000000002F30: 8008083C
	s_addc_u32 s9, 0, s9                                       // 000000002F34: 82090980
	v_lshrrev_b32_e32 v4, 4, v0                                // 000000002F38: 20080084
	v_mul_lo_u32 v20, 34, v4                                   // 000000002F3C: D2850014 000208A2
	v_and_b32_e32 v4, 15, v0                                   // 000000002F44: 2608008F
	v_mul_lo_u32 v5, 2, v4                                     // 000000002F48: D2850005 00020882
	v_add_u32_e32 v20, v5, v20                                 // 000000002F50: 68282905
	s_mul_i32 s60, s7, 0x88                                    // 000000002F54: 923CFF07 00000088
	v_add_u32_e32 v20, s60, v20                                // 000000002F5C: 6828283C
	v_lshlrev_b32_e32 v20, 2, v20                              // 000000002F60: 24282882
	v_and_b32_e32 v4, 31, v0                                   // 000000002F64: 2608009F
	v_lshrrev_b32_e32 v4, 1, v4                                // 000000002F68: 20080881
	v_mul_lo_u32 v21, 34, v4                                   // 000000002F6C: D2850015 000208A2
	v_lshrrev_b32_e32 v4, 5, v0                                // 000000002F74: 20080085
	v_mul_lo_u32 v4, 8, v4                                     // 000000002F78: D2850004 00020888
	v_add_u32_e32 v21, v21, v4                                 // 000000002F80: 682A0915
	v_and_b32_e32 v5, 1, v0                                    // 000000002F84: 260A0081
	v_add_u32_e32 v21, v5, v21                                 // 000000002F88: 682A2B05
	s_mul_i32 s60, s7, 2                                       // 000000002F8C: 923C8207
	v_add_u32_e32 v21, s60, v21                                // 000000002F90: 682A2A3C
	v_lshlrev_b32_e32 v21, 2, v21                              // 000000002F94: 242A2A82
	s_mul_i32 s60, s7, 0xa20                                   // 000000002F98: 923CFF07 00000A20
	s_add_u32 s48, 0, s60                                      // 000000002FA0: 80303C80
	s_add_u32 s49, 0x2880, s48                                 // 000000002FA4: 803130FF 00002880
	v_lshrrev_b32_e32 v4, 4, v0                                // 000000002FAC: 20080084
	v_lshlrev_b32_e32 v5, 2, v4                                // 000000002FB0: 240A0882
	v_and_b32_e32 v4, 15, v0                                   // 000000002FB4: 2608008F
	v_lshrrev_b32_e32 v6, 2, v4                                // 000000002FB8: 200C0882
	v_lshlrev_b32_e32 v6, 5, v6                                // 000000002FBC: 240C0C85
	v_add_u32_e32 v5, v6, v5                                   // 000000002FC0: 680A0B06
	v_and_b32_e32 v4, 3, v0                                    // 000000002FC4: 26080083
	v_mul_u32_u24_e32 v6, 0x288, v4                            // 000000002FC8: 100C08FF 00000288
	v_add_u32_e32 v5, v6, v5                                   // 000000002FD0: 680A0B06
	v_lshlrev_b32_e32 v2, 2, v5                                // 000000002FD4: 24040A82
	s_waitcnt lgkmcnt(0)                                       // 000000002FD8: BF8CC07F
	s_mul_i32 s60, s2, 0x100                                   // 000000002FDC: 923CFF02 00000100
	s_mul_i32 s60, s60, s69                                    // 000000002FE4: 923C453C
	s_mul_i32 s61, s5, s72                                     // 000000002FE8: 923D4805
	s_add_u32 s60, s61, s60                                    // 000000002FEC: 803C3C3D
	s_add_u32 s24, s60, s24                                    // 000000002FF0: 8018183C
	s_addc_u32 s25, 0, s25                                     // 000000002FF4: 82191980
	s_lshr_b32 s60, s64, s88                                   // 000000002FF8: 8F3C5840
	s_mul_i32 s60, s4, s60                                     // 000000002FFC: 923C3C04
	s_lshr_b32 s60, s60, 7                                     // 000000003000: 8F3C873C
	s_mul_i32 s60, s60, 0x800                                  // 000000003004: 923CFF3C 00000800
	s_add_u32 s24, s60, s24                                    // 00000000300C: 8018183C
	s_addc_u32 s25, 0, s25                                     // 000000003010: 82191980
	s_lshr_b32 s60, s69, s88                                   // 000000003014: 8F3C5845
	s_mul_i32 s60, s4, s60                                     // 000000003018: 923C3C04
	s_add_u32 s20, s60, s20                                    // 00000000301C: 8014143C
	s_addc_u32 s21, 0, s21                                     // 000000003020: 82151580
	s_mul_i32 s60, s7, 16                                      // 000000003024: 923C9007
	s_mul_i32 s60, s60, s69                                    // 000000003028: 923C453C
	v_lshlrev_b32_e32 v58, 4, v0                               // 00000000302C: 24740084
	v_add_u32_e32 v58, s60, v58                                // 000000003030: 6874743C
	s_mul_i32 s60, 64, s69                                     // 000000003034: 923C45C0
	v_add_u32_e32 v59, s60, v58                                // 000000003038: 6876743C
	v_add_u32_e32 v60, s60, v59                                // 00000000303C: 6878763C
	v_add_u32_e32 v61, s60, v60                                // 000000003040: 687A783C
	s_mov_b32 s84, s24                                         // 000000003044: BED40018
	s_mov_b32 s85, s25                                         // 000000003048: BED50019
	s_mov_b32 s86, s26                                         // 00000000304C: BED6001A
	s_mov_b32 s87, s27                                         // 000000003050: BED7001B
	s_mul_i32 s60, s69, s65                                    // 000000003054: 923C4145
	s_add_u32 s84, s60, s84                                    // 000000003058: 8054543C
	s_addc_u32 s85, 0, s85                                     // 00000000305C: 82555580
	s_lshr_b32 s60, s64, 7                                     // 000000003060: 8F3C8740
	s_mul_i32 s61, s60, 4                                      // 000000003064: 923D843C
	v_and_b32_e32 v22, 15, v0                                  // 000000003068: 262C008F
	v_mul_lo_u32 v22, v22, s61                                 // 00000000306C: D2850016 00007B16
	s_lshr_b32 s60, s65, 7                                     // 000000003074: 8F3C8741
	s_mul_i32 s60, s60, s61                                    // 000000003078: 923C3D3C
	v_add_u32_e64 v23, v22, s60                                // 00000000307C: D1340017 00007916
	s_mul_i32 s60, s2, 2                                       // 000000003084: 923C8202
	s_mul_i32 s60, s60, s61                                    // 000000003088: 923C3D3C
	s_mul_i32 s61, s5, s74                                     // 00000000308C: 923D4A05
	s_add_u32 s61, s61, s60                                    // 000000003090: 803D3C3D
	s_add_u32 s32, s61, s32                                    // 000000003094: 8020203D
	s_addc_u32 s33, 0, s33                                     // 000000003098: 82212180
	s_lshr_b32 s60, s64, 7                                     // 00000000309C: 8F3C8740
	s_lshr_b32 s60, s60, s88                                   // 0000000030A0: 8F3C583C
	s_mul_i32 s60, s4, s60                                     // 0000000030A4: 923C3C04
	s_mul_i32 s61, s60, 4                                      // 0000000030A8: 923D843C
	s_add_u32 s32, s61, s32                                    // 0000000030AC: 8020203D
	s_addc_u32 s33, 0, s33                                     // 0000000030B0: 82212180
	s_lshl_b32 s62, s66, 2                                     // 0000000030B4: 8E3E8242
	s_mul_i32 s62, s60, s62                                    // 0000000030B8: 923E3E3C
	s_add_u32 s28, s62, s28                                    // 0000000030BC: 801C1C3E
	s_addc_u32 s29, 0, s29                                     // 0000000030C0: 821D1D80
	s_mov_b32 s4, 4                                            // 0000000030C4: BE840084
	s_mov_b32 s57, 0x80                                        // 0000000030C8: BEB900FF 00000080
	s_mov_b32 s58, 0x800                                       // 0000000030D0: BEBA00FF 00000800
	s_mov_b32 s83, s58                                         // 0000000030D8: BED3003A
	s_mov_b32 s52, 0x7060302                                   // 0000000030DC: BEB400FF 07060302
	s_mov_b32 s53, 0x400                                       // 0000000030E4: BEB500FF 00000400
	s_mov_b32 s54, 0x40100                                     // 0000000030EC: BEB600FF 00040100
	s_mov_b32 s55, 0x4020100                                   // 0000000030F4: BEB700FF 04020100
	s_mov_b32 s6, 0x3fb8aa3b                                   // 0000000030FC: BE8600FF 3FB8AA3B
	s_mov_b32 s78, 0xbd92220c                                  // 000000003104: BECE00FF BD92220C
	s_mov_b32 s79, 0xbd92220c                                  // 00000000310C: BECF00FF BD92220C
	s_mov_b32 m0, s48                                          // 000000003114: BEFC0030
	v_mov_b32_e32 v1, 0xbfcc4231                               // 000000003118: 7E0202FF BFCC4231
	v_mov_b32_e32 v17, 0xffff0000                              // 000000003120: 7E2202FF FFFF0000
	v_mov_b32_e32 v18, 0x7fff0000                              // 000000003128: 7E2402FF 7FFF0000
	v_mov_b32_e32 v19, 0x7fff                                  // 000000003130: 7E2602FF 00007FFF
	s_waitcnt vmcnt(0) expcnt(0) lgkmcnt(0)                    // 000000003138: BF8C0000
	v_lshrrev_b32_e32 v4, 5, v0                                // 00000000313C: 20080085
	v_xor_b32_e32 v5, 1, v4                                    // 000000003140: 2A0A0881
	v_readlane_b32 s82, v3, 0                                  // 000000003144: D2890052 00010103
	s_and_b32 s82, s82, 0xffffff                               // 00000000314C: 8652FF52 00FFFFFF
	v_mul_lo_u32 v6, v5, s82                                   // 000000003154: D2850006 0000A505
	v_readlane_b32 s82, v3, 1                                  // 00000000315C: D2890052 00010303
	s_and_b32 s82, s82, 0xffffff                               // 000000003164: 8652FF52 00FFFFFF
	v_mul_lo_u32 v7, v4, s82                                   // 00000000316C: D2850007 0000A504
	v_add_u32_e32 v48, v6, v7                                  // 000000003174: 68600F06
	v_mul_lo_u32 v48, v48, s68                                 // 000000003178: D2850030 00008930
	v_readlane_b32 s82, v3, 2                                  // 000000003180: D2890052 00010503
	s_and_b32 s82, s82, 0xffffff                               // 000000003188: 8652FF52 00FFFFFF
	v_mul_lo_u32 v6, v5, s82                                   // 000000003190: D2850006 0000A505
	v_readlane_b32 s82, v3, 3                                  // 000000003198: D2890052 00010703
	s_and_b32 s82, s82, 0xffffff                               // 0000000031A0: 8652FF52 00FFFFFF
	v_mul_lo_u32 v7, v4, s82                                   // 0000000031A8: D2850007 0000A504
	v_add_u32_e32 v49, v6, v7                                  // 0000000031B0: 68620F06
	v_mul_lo_u32 v49, v49, s68                                 // 0000000031B4: D2850031 00008931
	v_readlane_b32 s82, v3, 4                                  // 0000000031BC: D2890052 00010903
	s_and_b32 s82, s82, 0xffffff                               // 0000000031C4: 8652FF52 00FFFFFF
	v_mul_lo_u32 v6, v5, s82                                   // 0000000031CC: D2850006 0000A505
	v_readlane_b32 s82, v3, 5                                  // 0000000031D4: D2890052 00010B03
	s_and_b32 s82, s82, 0xffffff                               // 0000000031DC: 8652FF52 00FFFFFF
	v_mul_lo_u32 v7, v4, s82                                   // 0000000031E4: D2850007 0000A504
	v_add_u32_e32 v50, v6, v7                                  // 0000000031EC: 68640F06
	v_mul_lo_u32 v50, v50, s68                                 // 0000000031F0: D2850032 00008932
	v_readlane_b32 s82, v3, 6                                  // 0000000031F8: D2890052 00010D03
	s_and_b32 s82, s82, 0xffffff                               // 000000003200: 8652FF52 00FFFFFF
	v_mul_lo_u32 v6, v5, s82                                   // 000000003208: D2850006 0000A505
	v_readlane_b32 s82, v3, 7                                  // 000000003210: D2890052 00010F03
	s_and_b32 s82, s82, 0xffffff                               // 000000003218: 8652FF52 00FFFFFF
	v_mul_lo_u32 v7, v4, s82                                   // 000000003220: D2850007 0000A504
	v_add_u32_e32 v51, v6, v7                                  // 000000003228: 68660F06
	v_mul_lo_u32 v51, v51, s68                                 // 00000000322C: D2850033 00008933
	v_readlane_b32 s82, v3, 8                                  // 000000003234: D2890052 00011103
	s_and_b32 s82, s82, 0xffffff                               // 00000000323C: 8652FF52 00FFFFFF
	v_mul_lo_u32 v6, v5, s82                                   // 000000003244: D2850006 0000A505
	v_readlane_b32 s82, v3, 9                                  // 00000000324C: D2890052 00011303
	s_and_b32 s82, s82, 0xffffff                               // 000000003254: 8652FF52 00FFFFFF
	v_mul_lo_u32 v7, v4, s82                                   // 00000000325C: D2850007 0000A504
	v_add_u32_e32 v52, v6, v7                                  // 000000003264: 68680F06
	v_mul_lo_u32 v52, v52, s68                                 // 000000003268: D2850034 00008934
	v_readlane_b32 s82, v3, 10                                 // 000000003270: D2890052 00011503
	s_and_b32 s82, s82, 0xffffff                               // 000000003278: 8652FF52 00FFFFFF
	v_mul_lo_u32 v6, v5, s82                                   // 000000003280: D2850006 0000A505
	v_readlane_b32 s82, v3, 11                                 // 000000003288: D2890052 00011703
	s_and_b32 s82, s82, 0xffffff                               // 000000003290: 8652FF52 00FFFFFF
	v_mul_lo_u32 v7, v4, s82                                   // 000000003298: D2850007 0000A504
	v_add_u32_e32 v53, v6, v7                                  // 0000000032A0: 686A0F06
	v_mul_lo_u32 v53, v53, s68                                 // 0000000032A4: D2850035 00008935
	v_readlane_b32 s82, v3, 12                                 // 0000000032AC: D2890052 00011903
	s_and_b32 s82, s82, 0xffffff                               // 0000000032B4: 8652FF52 00FFFFFF
	v_mul_lo_u32 v6, v5, s82                                   // 0000000032BC: D2850006 0000A505
	v_readlane_b32 s82, v3, 13                                 // 0000000032C4: D2890052 00011B03
	s_and_b32 s82, s82, 0xffffff                               // 0000000032CC: 8652FF52 00FFFFFF
	v_mul_lo_u32 v7, v4, s82                                   // 0000000032D4: D2850007 0000A504
	v_add_u32_e32 v54, v6, v7                                  // 0000000032DC: 686C0F06
	v_mul_lo_u32 v54, v54, s68                                 // 0000000032E0: D2850036 00008936
	v_readlane_b32 s82, v3, 14                                 // 0000000032E8: D2890052 00011D03
	s_and_b32 s82, s82, 0xffffff                               // 0000000032F0: 8652FF52 00FFFFFF
	v_mul_lo_u32 v6, v5, s82                                   // 0000000032F8: D2850006 0000A505
	v_readlane_b32 s82, v3, 15                                 // 000000003300: D2890052 00011F03
	s_and_b32 s82, s82, 0xffffff                               // 000000003308: 8652FF52 00FFFFFF
	v_mul_lo_u32 v7, v4, s82                                   // 000000003310: D2850007 0000A504
	v_add_u32_e32 v55, v6, v7                                  // 000000003318: 686E0F06
	v_mul_lo_u32 v55, v55, s68                                 // 00000000331C: D2850037 00008937
	v_readlane_b32 s82, v3, 16                                 // 000000003324: D2890052 00012103
	s_and_b32 s82, s82, 0xffffff                               // 00000000332C: 8652FF52 00FFFFFF
	v_mul_lo_u32 v6, v5, s82                                   // 000000003334: D2850006 0000A505
	v_readlane_b32 s82, v3, 17                                 // 00000000333C: D2890052 00012303
	s_and_b32 s82, s82, 0xffffff                               // 000000003344: 8652FF52 00FFFFFF
	v_mul_lo_u32 v7, v4, s82                                   // 00000000334C: D2850007 0000A504
	v_add_u32_e32 v56, v6, v7                                  // 000000003354: 68700F06
	v_mul_lo_u32 v56, v56, s68                                 // 000000003358: D2850038 00008938
	v_readlane_b32 s82, v3, 18                                 // 000000003360: D2890052 00012503
	s_and_b32 s82, s82, 0xffffff                               // 000000003368: 8652FF52 00FFFFFF
	v_mul_lo_u32 v6, v5, s82                                   // 000000003370: D2850006 0000A505
	v_readlane_b32 s82, v3, 19                                 // 000000003378: D2890052 00012703
	s_and_b32 s82, s82, 0xffffff                               // 000000003380: 8652FF52 00FFFFFF
	v_mul_lo_u32 v7, v4, s82                                   // 000000003388: D2850007 0000A504
	v_add_u32_e32 v57, v6, v7                                  // 000000003390: 68720F06
	v_mul_lo_u32 v57, v57, s68                                 // 000000003394: D2850039 00008939
	v_and_b32_e32 v4, 31, v0                                   // 00000000339C: 2608009F
	v_lshlrev_b32_e32 v4, 2, v4                                // 0000000033A0: 24080882
	v_add_u32_e32 v48, v48, v4                                 // 0000000033A4: 68600930
	v_add_u32_e32 v49, v49, v4                                 // 0000000033A8: 68620931
	v_add_u32_e32 v50, v50, v4                                 // 0000000033AC: 68640932
	v_add_u32_e32 v51, v51, v4                                 // 0000000033B0: 68660933
	v_add_u32_e32 v52, v52, v4                                 // 0000000033B4: 68680934
	v_add_u32_e32 v53, v53, v4                                 // 0000000033B8: 686A0935
	v_add_u32_e32 v54, v54, v4                                 // 0000000033BC: 686C0936
	v_add_u32_e32 v55, v55, v4                                 // 0000000033C0: 686E0937
	v_add_u32_e32 v56, v56, v4                                 // 0000000033C4: 68700938
	v_add_u32_e32 v57, v57, v4                                 // 0000000033C8: 68720939
	v_and_b32_e32 v28, 0xffffff, v28                           // 0000000033CC: 263838FF 00FFFFFF
	v_lshlrev_b32_e32 v28, 2, v28                              // 0000000033D4: 24383882
	v_and_b32_e32 v29, 0xffffff, v29                           // 0000000033D8: 263A3AFF 00FFFFFF
	v_lshlrev_b32_e32 v29, 2, v29                              // 0000000033E0: 243A3A82
	v_and_b32_e32 v30, 0xffffff, v30                           // 0000000033E4: 263C3CFF 00FFFFFF
	v_lshlrev_b32_e32 v30, 2, v30                              // 0000000033EC: 243C3C82
	v_and_b32_e32 v31, 0xffffff, v31                           // 0000000033F0: 263E3EFF 00FFFFFF
	v_lshlrev_b32_e32 v31, 2, v31                              // 0000000033F8: 243E3E82
	v_and_b32_e32 v32, 0xffffff, v32                           // 0000000033FC: 264040FF 00FFFFFF
	v_lshlrev_b32_e32 v32, 2, v32                              // 000000003404: 24404082
	s_lshl_b32 s3, s66, 2                                      // 000000003408: 8E038242
	buffer_load_dword v48, s[20:23], 0 offen lds               // 00000000340C: E0511000 80050030
	s_add_u32 m0, 0x100, s48                                   // 000000003414: 807C30FF 00000100
	buffer_load_dword v49, s[20:23], 0 offen lds               // 00000000341C: E0511000 80050031
	s_add_u32 m0, 0x200, s48                                   // 000000003424: 807C30FF 00000200
	buffer_load_dword v50, s[20:23], 0 offen lds               // 00000000342C: E0511000 80050032
	s_add_u32 m0, 0x300, s48                                   // 000000003434: 807C30FF 00000300
	buffer_load_dword v51, s[20:23], 0 offen lds               // 00000000343C: E0511000 80050033
	s_add_u32 m0, 0x400, s48                                   // 000000003444: 807C30FF 00000400
	buffer_load_dword v52, s[20:23], 0 offen lds               // 00000000344C: E0511000 80050034
	s_add_u32 m0, 0x500, s48                                   // 000000003454: 807C30FF 00000500
	buffer_load_dword v53, s[20:23], 0 offen lds               // 00000000345C: E0511000 80050035
	s_add_u32 m0, 0x600, s48                                   // 000000003464: 807C30FF 00000600
	buffer_load_dword v54, s[20:23], 0 offen lds               // 00000000346C: E0511000 80050036
	s_add_u32 m0, 0x700, s48                                   // 000000003474: 807C30FF 00000700
	buffer_load_dword v55, s[20:23], 0 offen lds               // 00000000347C: E0511000 80050037
	s_add_u32 m0, 0x800, s48                                   // 000000003484: 807C30FF 00000800
	buffer_load_dword v56, s[20:23], 0 offen lds               // 00000000348C: E0511000 80050038
	s_add_u32 m0, 0x900, s48                                   // 000000003494: 807C30FF 00000900
	buffer_load_dword v57, s[20:23], 0 offen lds               // 00000000349C: E0511000 80050039
	s_add_u32 m0, 0, s49                                       // 0000000034A4: 807C3180
	s_add_u32 s20, s57, s20                                    // 0000000034A8: 80141439
	s_addc_u32 s21, 0, s21                                     // 0000000034AC: 82151580
	buffer_load_dword v33, v28, s[28:31], 0 offen              // 0000000034B0: E0501000 8007211C
	buffer_load_dword v34, v29, s[28:31], 0 offen              // 0000000034B8: E0501000 8007221D
	buffer_load_dword v35, v30, s[28:31], 0 offen              // 0000000034C0: E0501000 8007231E
	buffer_load_dword v36, v31, s[28:31], 0 offen              // 0000000034C8: E0501000 8007241F
	buffer_load_dword v37, v32, s[28:31], 0 offen              // 0000000034D0: E0501000 80072520
	s_add_u32 s28, s3, s28                                     // 0000000034D8: 801C1C03
	s_addc_u32 s29, 0, s29                                     // 0000000034DC: 821D1D80
	buffer_load_dword v48, s[20:23], 0 offen lds               // 0000000034E0: E0511000 80050030
	s_add_u32 m0, 0x100, s49                                   // 0000000034E8: 807C31FF 00000100
	buffer_load_dword v49, s[20:23], 0 offen lds               // 0000000034F0: E0511000 80050031
	s_add_u32 m0, 0x200, s49                                   // 0000000034F8: 807C31FF 00000200
	buffer_load_dword v50, s[20:23], 0 offen lds               // 000000003500: E0511000 80050032
	s_add_u32 m0, 0x300, s49                                   // 000000003508: 807C31FF 00000300
	buffer_load_dword v51, s[20:23], 0 offen lds               // 000000003510: E0511000 80050033
	s_add_u32 m0, 0x400, s49                                   // 000000003518: 807C31FF 00000400
	;; [unrolled: 2-line block ×7, first 2 shown]
	buffer_load_dword v57, s[20:23], 0 offen lds               // 000000003570: E0511000 80050039
	s_add_u32 m0, 0, s48                                       // 000000003578: 807C3080
	s_add_u32 s20, s57, s20                                    // 00000000357C: 80141439
	s_addc_u32 s21, 0, s21                                     // 000000003580: 82151580
	buffer_load_dword v38, v28, s[28:31], 0 offen              // 000000003584: E0501000 8007261C
	buffer_load_dword v39, v29, s[28:31], 0 offen              // 00000000358C: E0501000 8007271D
	buffer_load_dword v40, v30, s[28:31], 0 offen              // 000000003594: E0501000 8007281E
	buffer_load_dword v41, v31, s[28:31], 0 offen              // 00000000359C: E0501000 8007291F
	buffer_load_dword v42, v32, s[28:31], 0 offen              // 0000000035A4: E0501000 80072A20
	s_add_u32 s28, s3, s28                                     // 0000000035AC: 801C1C03
	s_addc_u32 s29, 0, s29                                     // 0000000035B0: 821D1D80
	buffer_load_dword v24, v22, s[32:35], 0 offen              // 0000000035B4: E0501000 80081816
	buffer_load_dwordx4 a[80:83], v58, s[24:27], 0 offen       // 0000000035BC: E05C1000 8086503A
	buffer_load_dwordx4 a[84:87], v58, s[24:27], 0 offen offset:1024// 0000000035C4: E05C1400 8086543A
	buffer_load_dwordx4 a[88:91], v59, s[24:27], 0 offen       // 0000000035CC: E05C1000 8086583B
	buffer_load_dwordx4 a[92:95], v59, s[24:27], 0 offen offset:1024// 0000000035D4: E05C1400 80865C3B
	buffer_load_dwordx4 a[96:99], v60, s[24:27], 0 offen       // 0000000035DC: E05C1000 8086603C
	buffer_load_dwordx4 a[100:103], v60, s[24:27], 0 offen offset:1024// 0000000035E4: E05C1400 8086643C
	buffer_load_dwordx4 a[104:107], v61, s[24:27], 0 offen     // 0000000035EC: E05C1000 8086683D
	buffer_load_dwordx4 a[108:111], v61, s[24:27], 0 offen offset:1024// 0000000035F4: E05C1400 80866C3D
	s_add_u32 s24, s58, s24                                    // 0000000035FC: 8018183A
	s_addc_u32 s25, 0, s25                                     // 000000003600: 82191980
	s_waitcnt vmcnt(29)                                        // 000000003604: BF8C4F7D
	s_barrier                                                  // 000000003608: BF8A0000
	ds_read_b128 a[0:3], v2                                    // 00000000360C: DBFE0000 00000002
	ds_read_b128 a[4:7], v2 offset:64                          // 000000003614: DBFE0040 04000002
	ds_read_b128 a[8:11], v2 offset:512                        // 00000000361C: DBFE0200 08000002
	ds_read_b128 a[12:15], v2 offset:576                       // 000000003624: DBFE0240 0C000002
	ds_read_b128 a[16:19], v2 offset:1024                      // 00000000362C: DBFE0400 10000002
	ds_read_b128 a[20:23], v2 offset:1088                      // 000000003634: DBFE0440 14000002
	ds_read_b128 a[24:27], v2 offset:1536                      // 00000000363C: DBFE0600 18000002
	ds_read_b128 a[28:31], v2 offset:1600                      // 000000003644: DBFE0640 1C000002
	ds_read_b128 a[32:35], v2 offset:2048                      // 00000000364C: DBFE0800 20000002
	ds_read_b128 a[36:39], v2 offset:2112                      // 000000003654: DBFE0840 24000002
	s_cmp_lt_i32 s7, 2                                         // 00000000365C: BF048207
	s_cbranch_scc0 label_1BF0                                  // 000000003660: BF8418D4

0000000000003664 <label_0319>:
	s_waitcnt vmcnt(6) lgkmcnt(0)                              // 000000003664: BF8C0076
	s_barrier                                                  // 000000003668: BF8A0000
	v_mov_b32_e32 v43, v33                                     // 00000000366C: 7E560321
	v_mov_b32_e32 v44, v34                                     // 000000003670: 7E580322
	v_mov_b32_e32 v45, v35                                     // 000000003674: 7E5A0323
	v_mov_b32_e32 v46, v36                                     // 000000003678: 7E5C0324
	v_mov_b32_e32 v47, v37                                     // 00000000367C: 7E5E0325
	v_mul_f32_dpp v4, v24, v43 row_newbcast:0 row_mask:0xf bank_mask:0xf// 000000003680: 0A0856FA FF015018
	v_mfma_f32_16x16x32_fp8_fp8 v[8:11], a[80:81], a[0:1], 0   // 000000003688: D3F30008 1A020150
	buffer_load_dword v27, v23, s[32:35], 0 offen              // 000000003690: E0501000 80081B17
	v_mfma_f32_16x16x32_fp8_fp8 v[8:11], a[82:83], a[2:3], v[8:11]// 000000003698: D3F30008 1C220552
	buffer_load_dwordx4 a[112:115], v58, s[84:87], 0 offen     // 0000000036A0: E05C1000 8095703A
	v_mfma_f32_16x16x32_fp8_fp8 v[8:11], a[84:85], a[4:5], v[8:11]// 0000000036A8: D3F30008 1C220954
	v_mfma_f32_16x16x32_fp8_fp8 v[8:11], a[86:87], a[6:7], v[8:11]// 0000000036B0: D3F30008 1C220D56
	v_mul_f32_dpp v6, v24, v44 row_newbcast:0 row_mask:0xf bank_mask:0xf// 0000000036B8: 0A0C58FA FF015018
	v_mfma_f32_16x16x32_fp8_fp8 v[12:15], a[80:81], a[8:9], 0  // 0000000036C0: D3F3000C 1A021150
	v_mfma_f32_16x16x32_fp8_fp8 v[12:15], a[82:83], a[10:11], v[12:15]// 0000000036C8: D3F3000C 1C321552
	buffer_load_dwordx4 a[116:119], v58, s[84:87], 0 offen offset:1024// 0000000036D0: E05C1400 8095743A
	v_mfma_f32_16x16x32_fp8_fp8 v[12:15], a[84:85], a[12:13], v[12:15]// 0000000036D8: D3F3000C 1C321954
	v_mfma_f32_16x16x32_fp8_fp8 v[12:15], a[86:87], a[14:15], v[12:15]// 0000000036E0: D3F3000C 1C321D56
	v_fma_f32 v64, v8, v4, v64                                 // 0000000036E8: D1CB0040 05020908
	v_fma_f32 v65, v9, v4, v65                                 // 0000000036F0: D1CB0041 05060909
	v_fma_f32 v66, v10, v4, v66                                // 0000000036F8: D1CB0042 050A090A
	v_fma_f32 v67, v11, v4, v67                                // 000000003700: D1CB0043 050E090B
	v_mul_f32_dpp v4, v24, v45 row_newbcast:0 row_mask:0xf bank_mask:0xf// 000000003708: 0A085AFA FF015018
	v_mfma_f32_16x16x32_fp8_fp8 v[8:11], a[80:81], a[16:17], 0 // 000000003710: D3F30008 1A022150
	v_mfma_f32_16x16x32_fp8_fp8 v[8:11], a[82:83], a[18:19], v[8:11]// 000000003718: D3F30008 1C222552
	buffer_load_dwordx4 a[120:123], v59, s[84:87], 0 offen     // 000000003720: E05C1000 8095783B
	v_mfma_f32_16x16x32_fp8_fp8 v[8:11], a[84:85], a[20:21], v[8:11]// 000000003728: D3F30008 1C222954
	v_mfma_f32_16x16x32_fp8_fp8 v[8:11], a[86:87], a[22:23], v[8:11]// 000000003730: D3F30008 1C222D56
	v_fma_f32 v68, v12, v6, v68                                // 000000003738: D1CB0044 05120D0C
	v_fma_f32 v69, v13, v6, v69                                // 000000003740: D1CB0045 05160D0D
	v_fma_f32 v70, v14, v6, v70                                // 000000003748: D1CB0046 051A0D0E
	v_fma_f32 v71, v15, v6, v71                                // 000000003750: D1CB0047 051E0D0F
	v_mul_f32_dpp v6, v24, v46 row_newbcast:0 row_mask:0xf bank_mask:0xf// 000000003758: 0A0C5CFA FF015018
	v_mfma_f32_16x16x32_fp8_fp8 v[12:15], a[80:81], a[24:25], 0// 000000003760: D3F3000C 1A023150
	v_mfma_f32_16x16x32_fp8_fp8 v[12:15], a[82:83], a[26:27], v[12:15]// 000000003768: D3F3000C 1C323552
	buffer_load_dwordx4 a[124:127], v59, s[84:87], 0 offen offset:1024// 000000003770: E05C1400 80957C3B
	v_mfma_f32_16x16x32_fp8_fp8 v[12:15], a[84:85], a[28:29], v[12:15]// 000000003778: D3F3000C 1C323954
	v_mfma_f32_16x16x32_fp8_fp8 v[12:15], a[86:87], a[30:31], v[12:15]// 000000003780: D3F3000C 1C323D56
	v_fma_f32 v72, v8, v4, v72                                 // 000000003788: D1CB0048 05220908
	v_fma_f32 v73, v9, v4, v73                                 // 000000003790: D1CB0049 05260909
	v_fma_f32 v74, v10, v4, v74                                // 000000003798: D1CB004A 052A090A
	v_fma_f32 v75, v11, v4, v75                                // 0000000037A0: D1CB004B 052E090B
	v_mul_f32_dpp v4, v24, v47 row_newbcast:0 row_mask:0xf bank_mask:0xf// 0000000037A8: 0A085EFA FF015018
	v_mfma_f32_16x16x32_fp8_fp8 v[8:11], a[80:81], a[32:33], 0 // 0000000037B0: D3F30008 1A024150
	v_mfma_f32_16x16x32_fp8_fp8 v[8:11], a[82:83], a[34:35], v[8:11]// 0000000037B8: D3F30008 1C224552
	buffer_load_dwordx4 a[128:131], v60, s[84:87], 0 offen     // 0000000037C0: E05C1000 8095803C
	v_mfma_f32_16x16x32_fp8_fp8 v[8:11], a[84:85], a[36:37], v[8:11]// 0000000037C8: D3F30008 1C224954
	v_mfma_f32_16x16x32_fp8_fp8 v[8:11], a[86:87], a[38:39], v[8:11]// 0000000037D0: D3F30008 1C224D56
	v_fma_f32 v76, v12, v6, v76                                // 0000000037D8: D1CB004C 05320D0C
	v_fma_f32 v77, v13, v6, v77                                // 0000000037E0: D1CB004D 05360D0D
	v_fma_f32 v78, v14, v6, v78                                // 0000000037E8: D1CB004E 053A0D0E
	v_fma_f32 v79, v15, v6, v79                                // 0000000037F0: D1CB004F 053E0D0F
	s_waitcnt vmcnt(10)                                        // 0000000037F8: BF8C0F7A
	v_mul_f32_dpp v6, v24, v43 row_newbcast:0 row_mask:0xf bank_mask:0xf// 0000000037FC: 0A0C56FA FF015018
	v_mfma_f32_16x16x32_fp8_fp8 v[12:15], a[88:89], a[0:1], 0  // 000000003804: D3F3000C 1A020158
	v_mfma_f32_16x16x32_fp8_fp8 v[12:15], a[90:91], a[2:3], v[12:15]// 00000000380C: D3F3000C 1C32055A
	buffer_load_dwordx4 a[132:135], v60, s[84:87], 0 offen offset:1024// 000000003814: E05C1400 8095843C
	v_mfma_f32_16x16x32_fp8_fp8 v[12:15], a[92:93], a[4:5], v[12:15]// 00000000381C: D3F3000C 1C32095C
	v_mfma_f32_16x16x32_fp8_fp8 v[12:15], a[94:95], a[6:7], v[12:15]// 000000003824: D3F3000C 1C320D5E
	v_fma_f32 v80, v8, v4, v80                                 // 00000000382C: D1CB0050 05420908
	v_fma_f32 v81, v9, v4, v81                                 // 000000003834: D1CB0051 05460909
	v_fma_f32 v82, v10, v4, v82                                // 00000000383C: D1CB0052 054A090A
	v_fma_f32 v83, v11, v4, v83                                // 000000003844: D1CB0053 054E090B
	v_mul_f32_dpp v4, v24, v44 row_newbcast:0 row_mask:0xf bank_mask:0xf// 00000000384C: 0A0858FA FF015018
	v_mfma_f32_16x16x32_fp8_fp8 v[8:11], a[88:89], a[8:9], 0   // 000000003854: D3F30008 1A021158
	v_mfma_f32_16x16x32_fp8_fp8 v[8:11], a[90:91], a[10:11], v[8:11]// 00000000385C: D3F30008 1C22155A
	buffer_load_dwordx4 a[136:139], v61, s[84:87], 0 offen     // 000000003864: E05C1000 8095883D
	v_mfma_f32_16x16x32_fp8_fp8 v[8:11], a[92:93], a[12:13], v[8:11]// 00000000386C: D3F30008 1C22195C
	v_mfma_f32_16x16x32_fp8_fp8 v[8:11], a[94:95], a[14:15], v[8:11]// 000000003874: D3F30008 1C221D5E
	v_fma_f32 v84, v12, v6, v84                                // 00000000387C: D1CB0054 05520D0C
	v_fma_f32 v85, v13, v6, v85                                // 000000003884: D1CB0055 05560D0D
	v_fma_f32 v86, v14, v6, v86                                // 00000000388C: D1CB0056 055A0D0E
	v_fma_f32 v87, v15, v6, v87                                // 000000003894: D1CB0057 055E0D0F
	v_mul_f32_dpp v6, v24, v45 row_newbcast:0 row_mask:0xf bank_mask:0xf// 00000000389C: 0A0C5AFA FF015018
	v_mfma_f32_16x16x32_fp8_fp8 v[12:15], a[88:89], a[16:17], 0// 0000000038A4: D3F3000C 1A022158
	v_mfma_f32_16x16x32_fp8_fp8 v[12:15], a[90:91], a[18:19], v[12:15]// 0000000038AC: D3F3000C 1C32255A
	buffer_load_dwordx4 a[140:143], v61, s[84:87], 0 offen offset:1024// 0000000038B4: E05C1400 80958C3D
	buffer_load_dword v48, s[20:23], 0 offen lds               // 0000000038BC: E0511000 80050030
	s_add_u32 m0, 0x100, s48                                   // 0000000038C4: 807C30FF 00000100
	v_mfma_f32_16x16x32_fp8_fp8 v[12:15], a[92:93], a[20:21], v[12:15]// 0000000038CC: D3F3000C 1C32295C
	v_mfma_f32_16x16x32_fp8_fp8 v[12:15], a[94:95], a[22:23], v[12:15]// 0000000038D4: D3F3000C 1C322D5E
	buffer_load_dword v49, s[20:23], 0 offen lds               // 0000000038DC: E0511000 80050031
	s_add_u32 m0, 0x200, s48                                   // 0000000038E4: 807C30FF 00000200
	v_fma_f32 v88, v8, v4, v88                                 // 0000000038EC: D1CB0058 05620908
	v_fma_f32 v89, v9, v4, v89                                 // 0000000038F4: D1CB0059 05660909
	v_fma_f32 v90, v10, v4, v90                                // 0000000038FC: D1CB005A 056A090A
	v_fma_f32 v91, v11, v4, v91                                // 000000003904: D1CB005B 056E090B
	v_mul_f32_dpp v4, v24, v46 row_newbcast:0 row_mask:0xf bank_mask:0xf// 00000000390C: 0A085CFA FF015018
	v_mfma_f32_16x16x32_fp8_fp8 v[8:11], a[88:89], a[24:25], 0 // 000000003914: D3F30008 1A023158
	v_mfma_f32_16x16x32_fp8_fp8 v[8:11], a[90:91], a[26:27], v[8:11]// 00000000391C: D3F30008 1C22355A
	buffer_load_dword v50, s[20:23], 0 offen lds               // 000000003924: E0511000 80050032
	s_add_u32 m0, 0x300, s48                                   // 00000000392C: 807C30FF 00000300
	v_mfma_f32_16x16x32_fp8_fp8 v[8:11], a[92:93], a[28:29], v[8:11]// 000000003934: D3F30008 1C22395C
	v_mfma_f32_16x16x32_fp8_fp8 v[8:11], a[94:95], a[30:31], v[8:11]// 00000000393C: D3F30008 1C223D5E
	buffer_load_dword v51, s[20:23], 0 offen lds               // 000000003944: E0511000 80050033
	s_add_u32 m0, 0x400, s48                                   // 00000000394C: 807C30FF 00000400
	v_fma_f32 v92, v12, v6, v92                                // 000000003954: D1CB005C 05720D0C
	v_fma_f32 v93, v13, v6, v93                                // 00000000395C: D1CB005D 05760D0D
	v_fma_f32 v94, v14, v6, v94                                // 000000003964: D1CB005E 057A0D0E
	v_fma_f32 v95, v15, v6, v95                                // 00000000396C: D1CB005F 057E0D0F
	v_mul_f32_dpp v6, v24, v47 row_newbcast:0 row_mask:0xf bank_mask:0xf// 000000003974: 0A0C5EFA FF015018
	v_mfma_f32_16x16x32_fp8_fp8 v[12:15], a[88:89], a[32:33], 0// 00000000397C: D3F3000C 1A024158
	v_mfma_f32_16x16x32_fp8_fp8 v[12:15], a[90:91], a[34:35], v[12:15]// 000000003984: D3F3000C 1C32455A
	buffer_load_dword v52, s[20:23], 0 offen lds               // 00000000398C: E0511000 80050034
	s_add_u32 m0, 0x500, s48                                   // 000000003994: 807C30FF 00000500
	v_mfma_f32_16x16x32_fp8_fp8 v[12:15], a[92:93], a[36:37], v[12:15]// 00000000399C: D3F3000C 1C32495C
	v_mfma_f32_16x16x32_fp8_fp8 v[12:15], a[94:95], a[38:39], v[12:15]// 0000000039A4: D3F3000C 1C324D5E
	buffer_load_dword v53, s[20:23], 0 offen lds               // 0000000039AC: E0511000 80050035
	s_add_u32 m0, 0x600, s48                                   // 0000000039B4: 807C30FF 00000600
	v_fma_f32 v96, v8, v4, v96                                 // 0000000039BC: D1CB0060 05820908
	v_fma_f32 v97, v9, v4, v97                                 // 0000000039C4: D1CB0061 05860909
	v_fma_f32 v98, v10, v4, v98                                // 0000000039CC: D1CB0062 058A090A
	v_fma_f32 v99, v11, v4, v99                                // 0000000039D4: D1CB0063 058E090B
	s_waitcnt vmcnt(17)                                        // 0000000039DC: BF8C4F71
	v_mul_f32_dpp v4, v24, v43 row_newbcast:1 row_mask:0xf bank_mask:0xf// 0000000039E0: 0A0856FA FF015118
	v_mfma_f32_16x16x32_fp8_fp8 v[8:11], a[96:97], a[0:1], 0   // 0000000039E8: D3F30008 1A020160
	v_mfma_f32_16x16x32_fp8_fp8 v[8:11], a[98:99], a[2:3], v[8:11]// 0000000039F0: D3F30008 1C220562
	buffer_load_dword v54, s[20:23], 0 offen lds               // 0000000039F8: E0511000 80050036
	s_add_u32 m0, 0x700, s48                                   // 000000003A00: 807C30FF 00000700
	v_mfma_f32_16x16x32_fp8_fp8 v[8:11], a[100:101], a[4:5], v[8:11]// 000000003A08: D3F30008 1C220964
	v_mfma_f32_16x16x32_fp8_fp8 v[8:11], a[102:103], a[6:7], v[8:11]// 000000003A10: D3F30008 1C220D66
	buffer_load_dword v55, s[20:23], 0 offen lds               // 000000003A18: E0511000 80050037
	s_add_u32 m0, 0x800, s48                                   // 000000003A20: 807C30FF 00000800
	v_fma_f32 v100, v12, v6, v100                              // 000000003A28: D1CB0064 05920D0C
	v_fma_f32 v101, v13, v6, v101                              // 000000003A30: D1CB0065 05960D0D
	v_fma_f32 v102, v14, v6, v102                              // 000000003A38: D1CB0066 059A0D0E
	v_fma_f32 v103, v15, v6, v103                              // 000000003A40: D1CB0067 059E0D0F
	v_mul_f32_dpp v6, v24, v44 row_newbcast:1 row_mask:0xf bank_mask:0xf// 000000003A48: 0A0C58FA FF015118
	v_mfma_f32_16x16x32_fp8_fp8 v[12:15], a[96:97], a[8:9], 0  // 000000003A50: D3F3000C 1A021160
	v_mfma_f32_16x16x32_fp8_fp8 v[12:15], a[98:99], a[10:11], v[12:15]// 000000003A58: D3F3000C 1C321562
	buffer_load_dword v56, s[20:23], 0 offen lds               // 000000003A60: E0511000 80050038
	s_add_u32 m0, 0x900, s48                                   // 000000003A68: 807C30FF 00000900
	v_mfma_f32_16x16x32_fp8_fp8 v[12:15], a[100:101], a[12:13], v[12:15]// 000000003A70: D3F3000C 1C321964
	v_mfma_f32_16x16x32_fp8_fp8 v[12:15], a[102:103], a[14:15], v[12:15]// 000000003A78: D3F3000C 1C321D66
	buffer_load_dword v57, s[20:23], 0 offen lds               // 000000003A80: E0511000 80050039
	s_add_u32 m0, 0, s49                                       // 000000003A88: 807C3180
	v_fma_f32 v104, v8, v4, v104                               // 000000003A8C: D1CB0068 05A20908
	v_fma_f32 v105, v9, v4, v105                               // 000000003A94: D1CB0069 05A60909
	v_fma_f32 v106, v10, v4, v106                              // 000000003A9C: D1CB006A 05AA090A
	v_fma_f32 v107, v11, v4, v107                              // 000000003AA4: D1CB006B 05AE090B
	v_mul_f32_dpp v4, v24, v45 row_newbcast:1 row_mask:0xf bank_mask:0xf// 000000003AAC: 0A085AFA FF015118
	v_mfma_f32_16x16x32_fp8_fp8 v[8:11], a[96:97], a[16:17], 0 // 000000003AB4: D3F30008 1A022160
	v_mfma_f32_16x16x32_fp8_fp8 v[8:11], a[98:99], a[18:19], v[8:11]// 000000003ABC: D3F30008 1C222562
	buffer_load_dword v33, v28, s[28:31], 0 offen              // 000000003AC4: E0501000 8007211C
	v_mfma_f32_16x16x32_fp8_fp8 v[8:11], a[100:101], a[20:21], v[8:11]// 000000003ACC: D3F30008 1C222964
	v_mfma_f32_16x16x32_fp8_fp8 v[8:11], a[102:103], a[22:23], v[8:11]// 000000003AD4: D3F30008 1C222D66
	buffer_load_dword v34, v29, s[28:31], 0 offen              // 000000003ADC: E0501000 8007221D
	v_fma_f32 v108, v12, v6, v108                              // 000000003AE4: D1CB006C 05B20D0C
	v_fma_f32 v109, v13, v6, v109                              // 000000003AEC: D1CB006D 05B60D0D
	v_fma_f32 v110, v14, v6, v110                              // 000000003AF4: D1CB006E 05BA0D0E
	v_fma_f32 v111, v15, v6, v111                              // 000000003AFC: D1CB006F 05BE0D0F
	v_mul_f32_dpp v6, v24, v46 row_newbcast:1 row_mask:0xf bank_mask:0xf// 000000003B04: 0A0C5CFA FF015118
	v_mfma_f32_16x16x32_fp8_fp8 v[12:15], a[96:97], a[24:25], 0// 000000003B0C: D3F3000C 1A023160
	v_mfma_f32_16x16x32_fp8_fp8 v[12:15], a[98:99], a[26:27], v[12:15]// 000000003B14: D3F3000C 1C323562
	buffer_load_dword v35, v30, s[28:31], 0 offen              // 000000003B1C: E0501000 8007231E
	v_mfma_f32_16x16x32_fp8_fp8 v[12:15], a[100:101], a[28:29], v[12:15]// 000000003B24: D3F3000C 1C323964
	v_mfma_f32_16x16x32_fp8_fp8 v[12:15], a[102:103], a[30:31], v[12:15]// 000000003B2C: D3F3000C 1C323D66
	buffer_load_dword v36, v31, s[28:31], 0 offen              // 000000003B34: E0501000 8007241F
	v_fma_f32 v112, v8, v4, v112                               // 000000003B3C: D1CB0070 05C20908
	v_fma_f32 v113, v9, v4, v113                               // 000000003B44: D1CB0071 05C60909
	v_fma_f32 v114, v10, v4, v114                              // 000000003B4C: D1CB0072 05CA090A
	v_fma_f32 v115, v11, v4, v115                              // 000000003B54: D1CB0073 05CE090B
	v_mul_f32_dpp v4, v24, v47 row_newbcast:1 row_mask:0xf bank_mask:0xf// 000000003B5C: 0A085EFA FF015118
	v_mfma_f32_16x16x32_fp8_fp8 v[8:11], a[96:97], a[32:33], 0 // 000000003B64: D3F30008 1A024160
	v_mfma_f32_16x16x32_fp8_fp8 v[8:11], a[98:99], a[34:35], v[8:11]// 000000003B6C: D3F30008 1C224562
	buffer_load_dword v37, v32, s[28:31], 0 offen              // 000000003B74: E0501000 80072520
	v_mfma_f32_16x16x32_fp8_fp8 v[8:11], a[100:101], a[36:37], v[8:11]// 000000003B7C: D3F30008 1C224964
	v_mfma_f32_16x16x32_fp8_fp8 v[8:11], a[102:103], a[38:39], v[8:11]// 000000003B84: D3F30008 1C224D66
	v_fma_f32 v116, v12, v6, v116                              // 000000003B8C: D1CB0074 05D20D0C
	v_fma_f32 v117, v13, v6, v117                              // 000000003B94: D1CB0075 05D60D0D
	v_fma_f32 v118, v14, v6, v118                              // 000000003B9C: D1CB0076 05DA0D0E
	v_fma_f32 v119, v15, v6, v119                              // 000000003BA4: D1CB0077 05DE0D0F
	s_waitcnt vmcnt(24)                                        // 000000003BAC: BF8C4F78
	v_mul_f32_dpp v6, v24, v43 row_newbcast:1 row_mask:0xf bank_mask:0xf// 000000003BB0: 0A0C56FA FF015118
	v_mfma_f32_16x16x32_fp8_fp8 v[12:15], a[104:105], a[0:1], 0// 000000003BB8: D3F3000C 1A020168
	v_mfma_f32_16x16x32_fp8_fp8 v[12:15], a[106:107], a[2:3], v[12:15]// 000000003BC0: D3F3000C 1C32056A
	v_mfma_f32_16x16x32_fp8_fp8 v[12:15], a[108:109], a[4:5], v[12:15]// 000000003BC8: D3F3000C 1C32096C
	v_mfma_f32_16x16x32_fp8_fp8 v[12:15], a[110:111], a[6:7], v[12:15]// 000000003BD0: D3F3000C 1C320D6E
	v_fma_f32 v120, v8, v4, v120                               // 000000003BD8: D1CB0078 05E20908
	v_fma_f32 v121, v9, v4, v121                               // 000000003BE0: D1CB0079 05E60909
	v_fma_f32 v122, v10, v4, v122                              // 000000003BE8: D1CB007A 05EA090A
	v_fma_f32 v123, v11, v4, v123                              // 000000003BF0: D1CB007B 05EE090B
	v_mul_f32_dpp v4, v24, v44 row_newbcast:1 row_mask:0xf bank_mask:0xf// 000000003BF8: 0A0858FA FF015118
	v_mfma_f32_16x16x32_fp8_fp8 v[8:11], a[104:105], a[8:9], 0 // 000000003C00: D3F30008 1A021168
	v_mfma_f32_16x16x32_fp8_fp8 v[8:11], a[106:107], a[10:11], v[8:11]// 000000003C08: D3F30008 1C22156A
	v_mfma_f32_16x16x32_fp8_fp8 v[8:11], a[108:109], a[12:13], v[8:11]// 000000003C10: D3F30008 1C22196C
	v_mfma_f32_16x16x32_fp8_fp8 v[8:11], a[110:111], a[14:15], v[8:11]// 000000003C18: D3F30008 1C221D6E
	v_fma_f32 v124, v12, v6, v124                              // 000000003C20: D1CB007C 05F20D0C
	v_fma_f32 v125, v13, v6, v125                              // 000000003C28: D1CB007D 05F60D0D
	v_fma_f32 v126, v14, v6, v126                              // 000000003C30: D1CB007E 05FA0D0E
	v_fma_f32 v127, v15, v6, v127                              // 000000003C38: D1CB007F 05FE0D0F
	v_mul_f32_dpp v6, v24, v45 row_newbcast:1 row_mask:0xf bank_mask:0xf// 000000003C40: 0A0C5AFA FF015118
	v_mfma_f32_16x16x32_fp8_fp8 v[12:15], a[104:105], a[16:17], 0// 000000003C48: D3F3000C 1A022168
	v_mfma_f32_16x16x32_fp8_fp8 v[12:15], a[106:107], a[18:19], v[12:15]// 000000003C50: D3F3000C 1C32256A
	v_mfma_f32_16x16x32_fp8_fp8 v[12:15], a[108:109], a[20:21], v[12:15]// 000000003C58: D3F3000C 1C32296C
	v_mfma_f32_16x16x32_fp8_fp8 v[12:15], a[110:111], a[22:23], v[12:15]// 000000003C60: D3F3000C 1C322D6E
	v_fma_f32 v128, v8, v4, v128                               // 000000003C68: D1CB0080 06020908
	v_fma_f32 v129, v9, v4, v129                               // 000000003C70: D1CB0081 06060909
	v_fma_f32 v130, v10, v4, v130                              // 000000003C78: D1CB0082 060A090A
	v_fma_f32 v131, v11, v4, v131                              // 000000003C80: D1CB0083 060E090B
	v_mul_f32_dpp v4, v24, v46 row_newbcast:1 row_mask:0xf bank_mask:0xf// 000000003C88: 0A085CFA FF015118
	v_mfma_f32_16x16x32_fp8_fp8 v[8:11], a[104:105], a[24:25], 0// 000000003C90: D3F30008 1A023168
	v_mfma_f32_16x16x32_fp8_fp8 v[8:11], a[106:107], a[26:27], v[8:11]// 000000003C98: D3F30008 1C22356A
	v_mfma_f32_16x16x32_fp8_fp8 v[8:11], a[108:109], a[28:29], v[8:11]// 000000003CA0: D3F30008 1C22396C
	v_mfma_f32_16x16x32_fp8_fp8 v[8:11], a[110:111], a[30:31], v[8:11]// 000000003CA8: D3F30008 1C223D6E
	v_fma_f32 v132, v12, v6, v132                              // 000000003CB0: D1CB0084 06120D0C
	v_fma_f32 v133, v13, v6, v133                              // 000000003CB8: D1CB0085 06160D0D
	v_fma_f32 v134, v14, v6, v134                              // 000000003CC0: D1CB0086 061A0D0E
	v_fma_f32 v135, v15, v6, v135                              // 000000003CC8: D1CB0087 061E0D0F
	v_mul_f32_dpp v6, v24, v47 row_newbcast:1 row_mask:0xf bank_mask:0xf// 000000003CD0: 0A0C5EFA FF015118
	v_mfma_f32_16x16x32_fp8_fp8 v[12:15], a[104:105], a[32:33], 0// 000000003CD8: D3F3000C 1A024168
	v_mfma_f32_16x16x32_fp8_fp8 v[12:15], a[106:107], a[34:35], v[12:15]// 000000003CE0: D3F3000C 1C32456A
	s_add_u32 s60, 0x80, s80                                   // 000000003CE8: 803C50FF 00000080
	s_cmp_lt_u32 s60, s81                                      // 000000003CF0: BF0A513C
	s_cselect_b32 s83, s83, 0                                  // 000000003CF4: 85538053
	s_cselect_b32 s4, s4, 0                                    // 000000003CF8: 85048004
	v_mfma_f32_16x16x32_fp8_fp8 v[12:15], a[108:109], a[36:37], v[12:15]// 000000003CFC: D3F3000C 1C32496C
	s_add_u32 s32, s4, s32                                     // 000000003D04: 80202004
	s_addc_u32 s33, 0, s33                                     // 000000003D08: 82212180
	v_mfma_f32_16x16x32_fp8_fp8 v[12:15], a[110:111], a[38:39], v[12:15]// 000000003D0C: D3F3000C 1C324D6E
	v_fma_f32 v136, v8, v4, v136                               // 000000003D14: D1CB0088 06220908
	v_fma_f32 v137, v9, v4, v137                               // 000000003D1C: D1CB0089 06260909
	v_fma_f32 v138, v10, v4, v138                              // 000000003D24: D1CB008A 062A090A
	v_fma_f32 v139, v11, v4, v139                              // 000000003D2C: D1CB008B 062E090B
	v_fma_f32 v140, v12, v6, v140                              // 000000003D34: D1CB008C 06320D0C
	v_fma_f32 v141, v13, v6, v141                              // 000000003D3C: D1CB008D 06360D0D
	v_fma_f32 v142, v14, v6, v142                              // 000000003D44: D1CB008E 063A0D0E
	v_fma_f32 v143, v15, v6, v143                              // 000000003D4C: D1CB008F 063E0D0F
	s_waitcnt vmcnt(15)                                        // 000000003D54: BF8C0F7F
	v_mul_f32_dpp v4, v27, v43 row_newbcast:0 row_mask:0xf bank_mask:0xf// 000000003D58: 0A0856FA FF01501B
	v_mfma_f32_16x16x32_fp8_fp8 v[8:11], a[112:113], a[0:1], 0 // 000000003D60: D3F30008 1A020170
	buffer_load_dword v24, v22, s[32:35], 0 offen              // 000000003D68: E0501000 80081816
	v_mfma_f32_16x16x32_fp8_fp8 v[8:11], a[114:115], a[2:3], v[8:11]// 000000003D70: D3F30008 1C220572
	buffer_load_dwordx4 a[80:83], v58, s[24:27], 0 offen       // 000000003D78: E05C1000 8086503A
	v_mfma_f32_16x16x32_fp8_fp8 v[8:11], a[116:117], a[4:5], v[8:11]// 000000003D80: D3F30008 1C220974
	v_mfma_f32_16x16x32_fp8_fp8 v[8:11], a[118:119], a[6:7], v[8:11]// 000000003D88: D3F30008 1C220D76
	ds_read_b128 a[40:43], v2 offset:10368                     // 000000003D90: DBFE2880 28000002
	ds_read_b128 a[44:47], v2 offset:10432                     // 000000003D98: DBFE28C0 2C000002
	v_mfma_f32_16x16x32_fp8_fp8 v[12:15], a[120:121], a[0:1], 0// 000000003DA0: D3F3000C 1A020178
	v_mfma_f32_16x16x32_fp8_fp8 v[12:15], a[122:123], a[2:3], v[12:15]// 000000003DA8: D3F3000C 1C32057A
	buffer_load_dwordx4 a[84:87], v58, s[24:27], 0 offen offset:1024// 000000003DB0: E05C1400 8086543A
	v_mfma_f32_16x16x32_fp8_fp8 v[12:15], a[124:125], a[4:5], v[12:15]// 000000003DB8: D3F3000C 1C32097C
	v_mfma_f32_16x16x32_fp8_fp8 v[12:15], a[126:127], a[6:7], v[12:15]// 000000003DC0: D3F3000C 1C320D7E
	ds_read_b128 a[48:51], v2 offset:10880                     // 000000003DC8: DBFE2A80 30000002
	ds_read_b128 a[52:55], v2 offset:10944                     // 000000003DD0: DBFE2AC0 34000002
	v_fma_f32 v144, v8, v4, v144                               // 000000003DD8: D1CB0090 06420908
	v_fma_f32 v145, v9, v4, v145                               // 000000003DE0: D1CB0091 06460909
	v_fma_f32 v146, v10, v4, v146                              // 000000003DE8: D1CB0092 064A090A
	v_fma_f32 v147, v11, v4, v147                              // 000000003DF0: D1CB0093 064E090B
	v_mul_f32_dpp v6, v27, v43 row_newbcast:1 row_mask:0xf bank_mask:0xf// 000000003DF8: 0A0C56FA FF01511B
	v_mfma_f32_16x16x32_fp8_fp8 v[8:11], a[128:129], a[0:1], 0 // 000000003E00: D3F30008 1A020180
	v_mfma_f32_16x16x32_fp8_fp8 v[8:11], a[130:131], a[2:3], v[8:11]// 000000003E08: D3F30008 1C220582
	buffer_load_dwordx4 a[88:91], v59, s[24:27], 0 offen       // 000000003E10: E05C1000 8086583B
	v_mfma_f32_16x16x32_fp8_fp8 v[8:11], a[132:133], a[4:5], v[8:11]// 000000003E18: D3F30008 1C220984
	v_mfma_f32_16x16x32_fp8_fp8 v[8:11], a[134:135], a[6:7], v[8:11]// 000000003E20: D3F30008 1C220D86
	ds_read_b128 a[56:59], v2 offset:11392                     // 000000003E28: DBFE2C80 38000002
	ds_read_b128 a[60:63], v2 offset:11456                     // 000000003E30: DBFE2CC0 3C000002
	v_fma_f32 v164, v12, v4, v164                              // 000000003E38: D1CB00A4 0692090C
	v_fma_f32 v165, v13, v4, v165                              // 000000003E40: D1CB00A5 0696090D
	v_fma_f32 v166, v14, v4, v166                              // 000000003E48: D1CB00A6 069A090E
	v_fma_f32 v167, v15, v4, v167                              // 000000003E50: D1CB00A7 069E090F
	v_mfma_f32_16x16x32_fp8_fp8 v[12:15], a[136:137], a[0:1], 0// 000000003E58: D3F3000C 1A020188
	v_mfma_f32_16x16x32_fp8_fp8 v[12:15], a[138:139], a[2:3], v[12:15]// 000000003E60: D3F3000C 1C32058A
	buffer_load_dwordx4 a[92:95], v59, s[24:27], 0 offen offset:1024// 000000003E68: E05C1400 80865C3B
	v_mfma_f32_16x16x32_fp8_fp8 v[12:15], a[140:141], a[4:5], v[12:15]// 000000003E70: D3F3000C 1C32098C
	v_mfma_f32_16x16x32_fp8_fp8 v[12:15], a[142:143], a[6:7], v[12:15]// 000000003E78: D3F3000C 1C320D8E
	ds_read_b128 a[64:67], v2 offset:11904                     // 000000003E80: DBFE2E80 40000002
	ds_read_b128 a[68:71], v2 offset:11968                     // 000000003E88: DBFE2EC0 44000002
	v_fma_f32 v184, v8, v6, v184                               // 000000003E90: D1CB00B8 06E20D08
	v_fma_f32 v185, v9, v6, v185                               // 000000003E98: D1CB00B9 06E60D09
	v_fma_f32 v186, v10, v6, v186                              // 000000003EA0: D1CB00BA 06EA0D0A
	v_fma_f32 v187, v11, v6, v187                              // 000000003EA8: D1CB00BB 06EE0D0B
	v_mul_f32_dpp v4, v27, v44 row_newbcast:0 row_mask:0xf bank_mask:0xf// 000000003EB0: 0A0858FA FF01501B
	v_mfma_f32_16x16x32_fp8_fp8 v[8:11], a[112:113], a[8:9], 0 // 000000003EB8: D3F30008 1A021170
	v_mfma_f32_16x16x32_fp8_fp8 v[8:11], a[114:115], a[10:11], v[8:11]// 000000003EC0: D3F30008 1C221572
	buffer_load_dwordx4 a[96:99], v60, s[24:27], 0 offen       // 000000003EC8: E05C1000 8086603C
	v_mfma_f32_16x16x32_fp8_fp8 v[8:11], a[116:117], a[12:13], v[8:11]// 000000003ED0: D3F30008 1C221974
	v_mfma_f32_16x16x32_fp8_fp8 v[8:11], a[118:119], a[14:15], v[8:11]// 000000003ED8: D3F30008 1C221D76
	ds_read_b128 a[72:75], v2 offset:12416                     // 000000003EE0: DBFE3080 48000002
	ds_read_b128 a[76:79], v2 offset:12480                     // 000000003EE8: DBFE30C0 4C000002
	v_fma_f32 v204, v12, v6, v204                              // 000000003EF0: D1CB00CC 07320D0C
	v_fma_f32 v205, v13, v6, v205                              // 000000003EF8: D1CB00CD 07360D0D
	v_fma_f32 v206, v14, v6, v206                              // 000000003F00: D1CB00CE 073A0D0E
	v_fma_f32 v207, v15, v6, v207                              // 000000003F08: D1CB00CF 073E0D0F
	v_mfma_f32_16x16x32_fp8_fp8 v[12:15], a[120:121], a[8:9], 0// 000000003F10: D3F3000C 1A021178
	v_mfma_f32_16x16x32_fp8_fp8 v[12:15], a[122:123], a[10:11], v[12:15]// 000000003F18: D3F3000C 1C32157A
	buffer_load_dwordx4 a[100:103], v60, s[24:27], 0 offen offset:1024// 000000003F20: E05C1400 8086643C
	v_mfma_f32_16x16x32_fp8_fp8 v[12:15], a[124:125], a[12:13], v[12:15]// 000000003F28: D3F3000C 1C32197C
	v_mfma_f32_16x16x32_fp8_fp8 v[12:15], a[126:127], a[14:15], v[12:15]// 000000003F30: D3F3000C 1C321D7E
	v_fma_f32 v148, v8, v4, v148                               // 000000003F38: D1CB0094 06520908
	v_fma_f32 v149, v9, v4, v149                               // 000000003F40: D1CB0095 06560909
	v_fma_f32 v150, v10, v4, v150                              // 000000003F48: D1CB0096 065A090A
	v_fma_f32 v151, v11, v4, v151                              // 000000003F50: D1CB0097 065E090B
	v_mul_f32_dpp v6, v27, v44 row_newbcast:1 row_mask:0xf bank_mask:0xf// 000000003F58: 0A0C58FA FF01511B
	v_mfma_f32_16x16x32_fp8_fp8 v[8:11], a[128:129], a[8:9], 0 // 000000003F60: D3F30008 1A021180
	v_mfma_f32_16x16x32_fp8_fp8 v[8:11], a[130:131], a[10:11], v[8:11]// 000000003F68: D3F30008 1C221582
	buffer_load_dwordx4 a[104:107], v61, s[24:27], 0 offen     // 000000003F70: E05C1000 8086683D
	v_mfma_f32_16x16x32_fp8_fp8 v[8:11], a[132:133], a[12:13], v[8:11]// 000000003F78: D3F30008 1C221984
	v_mfma_f32_16x16x32_fp8_fp8 v[8:11], a[134:135], a[14:15], v[8:11]// 000000003F80: D3F30008 1C221D86
	v_fma_f32 v168, v12, v4, v168                              // 000000003F88: D1CB00A8 06A2090C
	v_fma_f32 v169, v13, v4, v169                              // 000000003F90: D1CB00A9 06A6090D
	v_fma_f32 v170, v14, v4, v170                              // 000000003F98: D1CB00AA 06AA090E
	v_fma_f32 v171, v15, v4, v171                              // 000000003FA0: D1CB00AB 06AE090F
	v_mfma_f32_16x16x32_fp8_fp8 v[12:15], a[136:137], a[8:9], 0// 000000003FA8: D3F3000C 1A021188
	v_mfma_f32_16x16x32_fp8_fp8 v[12:15], a[138:139], a[10:11], v[12:15]// 000000003FB0: D3F3000C 1C32158A
	buffer_load_dwordx4 a[108:111], v61, s[24:27], 0 offen offset:1024// 000000003FB8: E05C1400 80866C3D
	v_mfma_f32_16x16x32_fp8_fp8 v[12:15], a[140:141], a[12:13], v[12:15]// 000000003FC0: D3F3000C 1C32198C
	v_mfma_f32_16x16x32_fp8_fp8 v[12:15], a[142:143], a[14:15], v[12:15]// 000000003FC8: D3F3000C 1C321D8E
	v_fma_f32 v188, v8, v6, v188                               // 000000003FD0: D1CB00BC 06F20D08
	v_fma_f32 v189, v9, v6, v189                               // 000000003FD8: D1CB00BD 06F60D09
	v_fma_f32 v190, v10, v6, v190                              // 000000003FE0: D1CB00BE 06FA0D0A
	v_fma_f32 v191, v11, v6, v191                              // 000000003FE8: D1CB00BF 06FE0D0B
	v_mul_f32_dpp v4, v27, v45 row_newbcast:0 row_mask:0xf bank_mask:0xf// 000000003FF0: 0A085AFA FF01501B
	v_mfma_f32_16x16x32_fp8_fp8 v[8:11], a[112:113], a[16:17], 0// 000000003FF8: D3F30008 1A022170
	v_mfma_f32_16x16x32_fp8_fp8 v[8:11], a[114:115], a[18:19], v[8:11]// 000000004000: D3F30008 1C222572
	v_mfma_f32_16x16x32_fp8_fp8 v[8:11], a[116:117], a[20:21], v[8:11]// 000000004008: D3F30008 1C222974
	v_mfma_f32_16x16x32_fp8_fp8 v[8:11], a[118:119], a[22:23], v[8:11]// 000000004010: D3F30008 1C222D76
	v_fma_f32 v208, v12, v6, v208                              // 000000004018: D1CB00D0 07420D0C
	v_fma_f32 v209, v13, v6, v209                              // 000000004020: D1CB00D1 07460D0D
	v_fma_f32 v210, v14, v6, v210                              // 000000004028: D1CB00D2 074A0D0E
	v_fma_f32 v211, v15, v6, v211                              // 000000004030: D1CB00D3 074E0D0F
	v_mfma_f32_16x16x32_fp8_fp8 v[12:15], a[120:121], a[16:17], 0// 000000004038: D3F3000C 1A022178
	v_mfma_f32_16x16x32_fp8_fp8 v[12:15], a[122:123], a[18:19], v[12:15]// 000000004040: D3F3000C 1C32257A
	v_mfma_f32_16x16x32_fp8_fp8 v[12:15], a[124:125], a[20:21], v[12:15]// 000000004048: D3F3000C 1C32297C
	v_mfma_f32_16x16x32_fp8_fp8 v[12:15], a[126:127], a[22:23], v[12:15]// 000000004050: D3F3000C 1C322D7E
	v_fma_f32 v152, v8, v4, v152                               // 000000004058: D1CB0098 06620908
	v_fma_f32 v153, v9, v4, v153                               // 000000004060: D1CB0099 06660909
	v_fma_f32 v154, v10, v4, v154                              // 000000004068: D1CB009A 066A090A
	v_fma_f32 v155, v11, v4, v155                              // 000000004070: D1CB009B 066E090B
	v_mul_f32_dpp v6, v27, v45 row_newbcast:1 row_mask:0xf bank_mask:0xf// 000000004078: 0A0C5AFA FF01511B
	v_mfma_f32_16x16x32_fp8_fp8 v[8:11], a[128:129], a[16:17], 0// 000000004080: D3F30008 1A022180
	v_mfma_f32_16x16x32_fp8_fp8 v[8:11], a[130:131], a[18:19], v[8:11]// 000000004088: D3F30008 1C222582
	v_mfma_f32_16x16x32_fp8_fp8 v[8:11], a[132:133], a[20:21], v[8:11]// 000000004090: D3F30008 1C222984
	v_mfma_f32_16x16x32_fp8_fp8 v[8:11], a[134:135], a[22:23], v[8:11]// 000000004098: D3F30008 1C222D86
	v_fma_f32 v172, v12, v4, v172                              // 0000000040A0: D1CB00AC 06B2090C
	v_fma_f32 v173, v13, v4, v173                              // 0000000040A8: D1CB00AD 06B6090D
	v_fma_f32 v174, v14, v4, v174                              // 0000000040B0: D1CB00AE 06BA090E
	v_fma_f32 v175, v15, v4, v175                              // 0000000040B8: D1CB00AF 06BE090F
	v_mfma_f32_16x16x32_fp8_fp8 v[12:15], a[136:137], a[16:17], 0// 0000000040C0: D3F3000C 1A022188
	v_mfma_f32_16x16x32_fp8_fp8 v[12:15], a[138:139], a[18:19], v[12:15]// 0000000040C8: D3F3000C 1C32258A
	v_mfma_f32_16x16x32_fp8_fp8 v[12:15], a[140:141], a[20:21], v[12:15]// 0000000040D0: D3F3000C 1C32298C
	v_mfma_f32_16x16x32_fp8_fp8 v[12:15], a[142:143], a[22:23], v[12:15]// 0000000040D8: D3F3000C 1C322D8E
	v_fma_f32 v192, v8, v6, v192                               // 0000000040E0: D1CB00C0 07020D08
	v_fma_f32 v193, v9, v6, v193                               // 0000000040E8: D1CB00C1 07060D09
	v_fma_f32 v194, v10, v6, v194                              // 0000000040F0: D1CB00C2 070A0D0A
	v_fma_f32 v195, v11, v6, v195                              // 0000000040F8: D1CB00C3 070E0D0B
	v_mul_f32_dpp v4, v27, v46 row_newbcast:0 row_mask:0xf bank_mask:0xf// 000000004100: 0A085CFA FF01501B
	v_mfma_f32_16x16x32_fp8_fp8 v[8:11], a[112:113], a[24:25], 0// 000000004108: D3F30008 1A023170
	v_mfma_f32_16x16x32_fp8_fp8 v[8:11], a[114:115], a[26:27], v[8:11]// 000000004110: D3F30008 1C223572
	v_mfma_f32_16x16x32_fp8_fp8 v[8:11], a[116:117], a[28:29], v[8:11]// 000000004118: D3F30008 1C223974
	v_mfma_f32_16x16x32_fp8_fp8 v[8:11], a[118:119], a[30:31], v[8:11]// 000000004120: D3F30008 1C223D76
	v_fma_f32 v212, v12, v6, v212                              // 000000004128: D1CB00D4 07520D0C
	v_fma_f32 v213, v13, v6, v213                              // 000000004130: D1CB00D5 07560D0D
	v_fma_f32 v214, v14, v6, v214                              // 000000004138: D1CB00D6 075A0D0E
	v_fma_f32 v215, v15, v6, v215                              // 000000004140: D1CB00D7 075E0D0F
	v_mfma_f32_16x16x32_fp8_fp8 v[12:15], a[120:121], a[24:25], 0// 000000004148: D3F3000C 1A023178
	v_mfma_f32_16x16x32_fp8_fp8 v[12:15], a[122:123], a[26:27], v[12:15]// 000000004150: D3F3000C 1C32357A
	v_mfma_f32_16x16x32_fp8_fp8 v[12:15], a[124:125], a[28:29], v[12:15]// 000000004158: D3F3000C 1C32397C
	v_mfma_f32_16x16x32_fp8_fp8 v[12:15], a[126:127], a[30:31], v[12:15]// 000000004160: D3F3000C 1C323D7E
	v_fma_f32 v156, v8, v4, v156                               // 000000004168: D1CB009C 06720908
	v_fma_f32 v157, v9, v4, v157                               // 000000004170: D1CB009D 06760909
	v_fma_f32 v158, v10, v4, v158                              // 000000004178: D1CB009E 067A090A
	v_fma_f32 v159, v11, v4, v159                              // 000000004180: D1CB009F 067E090B
	v_mul_f32_dpp v6, v27, v46 row_newbcast:1 row_mask:0xf bank_mask:0xf// 000000004188: 0A0C5CFA FF01511B
	v_mfma_f32_16x16x32_fp8_fp8 v[8:11], a[128:129], a[24:25], 0// 000000004190: D3F30008 1A023180
	v_mfma_f32_16x16x32_fp8_fp8 v[8:11], a[130:131], a[26:27], v[8:11]// 000000004198: D3F30008 1C223582
	v_mfma_f32_16x16x32_fp8_fp8 v[8:11], a[132:133], a[28:29], v[8:11]// 0000000041A0: D3F30008 1C223984
	v_mfma_f32_16x16x32_fp8_fp8 v[8:11], a[134:135], a[30:31], v[8:11]// 0000000041A8: D3F30008 1C223D86
	v_fma_f32 v176, v12, v4, v176                              // 0000000041B0: D1CB00B0 06C2090C
	v_fma_f32 v177, v13, v4, v177                              // 0000000041B8: D1CB00B1 06C6090D
	v_fma_f32 v178, v14, v4, v178                              // 0000000041C0: D1CB00B2 06CA090E
	v_fma_f32 v179, v15, v4, v179                              // 0000000041C8: D1CB00B3 06CE090F
	v_mfma_f32_16x16x32_fp8_fp8 v[12:15], a[136:137], a[24:25], 0// 0000000041D0: D3F3000C 1A023188
	v_mfma_f32_16x16x32_fp8_fp8 v[12:15], a[138:139], a[26:27], v[12:15]// 0000000041D8: D3F3000C 1C32358A
	v_mfma_f32_16x16x32_fp8_fp8 v[12:15], a[140:141], a[28:29], v[12:15]// 0000000041E0: D3F3000C 1C32398C
	v_mfma_f32_16x16x32_fp8_fp8 v[12:15], a[142:143], a[30:31], v[12:15]// 0000000041E8: D3F3000C 1C323D8E
	v_fma_f32 v196, v8, v6, v196                               // 0000000041F0: D1CB00C4 07120D08
	v_fma_f32 v197, v9, v6, v197                               // 0000000041F8: D1CB00C5 07160D09
	v_fma_f32 v198, v10, v6, v198                              // 000000004200: D1CB00C6 071A0D0A
	v_fma_f32 v199, v11, v6, v199                              // 000000004208: D1CB00C7 071E0D0B
	v_mul_f32_dpp v4, v27, v47 row_newbcast:0 row_mask:0xf bank_mask:0xf// 000000004210: 0A085EFA FF01501B
	v_mfma_f32_16x16x32_fp8_fp8 v[8:11], a[112:113], a[32:33], 0// 000000004218: D3F30008 1A024170
	v_mfma_f32_16x16x32_fp8_fp8 v[8:11], a[114:115], a[34:35], v[8:11]// 000000004220: D3F30008 1C224572
	v_mfma_f32_16x16x32_fp8_fp8 v[8:11], a[116:117], a[36:37], v[8:11]// 000000004228: D3F30008 1C224974
	v_mfma_f32_16x16x32_fp8_fp8 v[8:11], a[118:119], a[38:39], v[8:11]// 000000004230: D3F30008 1C224D76
	v_fma_f32 v216, v12, v6, v216                              // 000000004238: D1CB00D8 07620D0C
	v_fma_f32 v217, v13, v6, v217                              // 000000004240: D1CB00D9 07660D0D
	v_fma_f32 v218, v14, v6, v218                              // 000000004248: D1CB00DA 076A0D0E
	v_fma_f32 v219, v15, v6, v219                              // 000000004250: D1CB00DB 076E0D0F
	v_mfma_f32_16x16x32_fp8_fp8 v[12:15], a[120:121], a[32:33], 0// 000000004258: D3F3000C 1A024178
	v_mfma_f32_16x16x32_fp8_fp8 v[12:15], a[122:123], a[34:35], v[12:15]// 000000004260: D3F3000C 1C32457A
	v_mfma_f32_16x16x32_fp8_fp8 v[12:15], a[124:125], a[36:37], v[12:15]// 000000004268: D3F3000C 1C32497C
	v_mfma_f32_16x16x32_fp8_fp8 v[12:15], a[126:127], a[38:39], v[12:15]// 000000004270: D3F3000C 1C324D7E
	v_fma_f32 v160, v8, v4, v160                               // 000000004278: D1CB00A0 06820908
	v_fma_f32 v161, v9, v4, v161                               // 000000004280: D1CB00A1 06860909
	v_fma_f32 v162, v10, v4, v162                              // 000000004288: D1CB00A2 068A090A
	v_fma_f32 v163, v11, v4, v163                              // 000000004290: D1CB00A3 068E090B
	v_mul_f32_dpp v6, v27, v47 row_newbcast:1 row_mask:0xf bank_mask:0xf// 000000004298: 0A0C5EFA FF01511B
	v_mfma_f32_16x16x32_fp8_fp8 v[8:11], a[128:129], a[32:33], 0// 0000000042A0: D3F30008 1A024180
	v_mfma_f32_16x16x32_fp8_fp8 v[8:11], a[130:131], a[34:35], v[8:11]// 0000000042A8: D3F30008 1C224582
	v_mfma_f32_16x16x32_fp8_fp8 v[8:11], a[132:133], a[36:37], v[8:11]// 0000000042B0: D3F30008 1C224984
	s_add_u32 s60, 0x180, s80                                  // 0000000042B8: 803C50FF 00000180
	s_cmp_lt_u32 s60, s81                                      // 0000000042C0: BF0A513C
	s_cselect_b32 s57, s57, 0                                  // 0000000042C4: 85398039
	s_cselect_b32 s3, s3, 0                                    // 0000000042C8: 85038003
	v_mfma_f32_16x16x32_fp8_fp8 v[8:11], a[134:135], a[38:39], v[8:11]// 0000000042CC: D3F30008 1C224D86
	s_add_u32 s60, 0x100, s80                                  // 0000000042D4: 803C50FF 00000100
	s_cmp_lt_u32 s60, s81                                      // 0000000042DC: BF0A513C
	s_cselect_b32 s58, s58, 0                                  // 0000000042E0: 853A803A
	v_fma_f32 v180, v12, v4, v180                              // 0000000042E4: D1CB00B4 06D2090C
	v_fma_f32 v181, v13, v4, v181                              // 0000000042EC: D1CB00B5 06D6090D
	v_fma_f32 v182, v14, v4, v182                              // 0000000042F4: D1CB00B6 06DA090E
	v_fma_f32 v183, v15, v4, v183                              // 0000000042FC: D1CB00B7 06DE090F
	v_mfma_f32_16x16x32_fp8_fp8 v[12:15], a[136:137], a[32:33], 0// 000000004304: D3F3000C 1A024188
	s_add_u32 s24, s58, s24                                    // 00000000430C: 8018183A
	s_addc_u32 s25, 0, s25                                     // 000000004310: 82191980
	v_mfma_f32_16x16x32_fp8_fp8 v[12:15], a[138:139], a[34:35], v[12:15]// 000000004314: D3F3000C 1C32458A
	s_add_u32 s20, s57, s20                                    // 00000000431C: 80141439
	s_addc_u32 s21, 0, s21                                     // 000000004320: 82151580
	s_add_u32 s28, s3, s28                                     // 000000004324: 801C1C03
	s_addc_u32 s29, 0, s29                                     // 000000004328: 821D1D80
	v_mfma_f32_16x16x32_fp8_fp8 v[12:15], a[140:141], a[36:37], v[12:15]// 00000000432C: D3F3000C 1C32498C
	s_add_u32 s84, s83, s84                                    // 000000004334: 80545453
	s_addc_u32 s85, 0, s85                                     // 000000004338: 82555580
	v_mfma_f32_16x16x32_fp8_fp8 v[12:15], a[142:143], a[38:39], v[12:15]// 00000000433C: D3F3000C 1C324D8E
	v_fma_f32 v200, v8, v6, v200                               // 000000004344: D1CB00C8 07220D08
	v_fma_f32 v201, v9, v6, v201                               // 00000000434C: D1CB00C9 07260D09
	v_fma_f32 v202, v10, v6, v202                              // 000000004354: D1CB00CA 072A0D0A
	v_fma_f32 v203, v11, v6, v203                              // 00000000435C: D1CB00CB 072E0D0B
	v_fma_f32 v220, v12, v6, v220                              // 000000004364: D1CB00DC 07720D0C
	v_fma_f32 v221, v13, v6, v221                              // 00000000436C: D1CB00DD 07760D0D
	v_fma_f32 v222, v14, v6, v222                              // 000000004374: D1CB00DE 077A0D0E
	v_fma_f32 v223, v15, v6, v223                              // 00000000437C: D1CB00DF 077E0D0F
	s_addk_i32 s80, 0x80                                       // 000000004384: B7500080
	s_cmp_lt_i32 s80, s81                                      // 000000004388: BF045150
	s_cbranch_scc0 label_09B0                                  // 00000000438C: BF84034C
	s_waitcnt vmcnt(6) lgkmcnt(0)                              // 000000004390: BF8C0076
	s_barrier                                                  // 000000004394: BF8A0000
	v_mov_b32_e32 v43, v38                                     // 000000004398: 7E560326
	v_mov_b32_e32 v44, v39                                     // 00000000439C: 7E580327
	v_mov_b32_e32 v45, v40                                     // 0000000043A0: 7E5A0328
	v_mov_b32_e32 v46, v41                                     // 0000000043A4: 7E5C0329
	v_mov_b32_e32 v47, v42                                     // 0000000043A8: 7E5E032A
	v_mul_f32_dpp v4, v24, v43 row_newbcast:0 row_mask:0xf bank_mask:0xf// 0000000043AC: 0A0856FA FF015018
	v_mfma_f32_16x16x32_fp8_fp8 v[8:11], a[80:81], a[40:41], 0 // 0000000043B4: D3F30008 1A025150
	buffer_load_dword v27, v23, s[32:35], 0 offen              // 0000000043BC: E0501000 80081B17
	v_mfma_f32_16x16x32_fp8_fp8 v[8:11], a[82:83], a[42:43], v[8:11]// 0000000043C4: D3F30008 1C225552
	buffer_load_dwordx4 a[112:115], v58, s[84:87], 0 offen     // 0000000043CC: E05C1000 8095703A
	v_mfma_f32_16x16x32_fp8_fp8 v[8:11], a[84:85], a[44:45], v[8:11]// 0000000043D4: D3F30008 1C225954
	v_mfma_f32_16x16x32_fp8_fp8 v[8:11], a[86:87], a[46:47], v[8:11]// 0000000043DC: D3F30008 1C225D56
	v_mul_f32_dpp v6, v24, v44 row_newbcast:0 row_mask:0xf bank_mask:0xf// 0000000043E4: 0A0C58FA FF015018
	v_mfma_f32_16x16x32_fp8_fp8 v[12:15], a[80:81], a[48:49], 0// 0000000043EC: D3F3000C 1A026150
	v_mfma_f32_16x16x32_fp8_fp8 v[12:15], a[82:83], a[50:51], v[12:15]// 0000000043F4: D3F3000C 1C326552
	buffer_load_dwordx4 a[116:119], v58, s[84:87], 0 offen offset:1024// 0000000043FC: E05C1400 8095743A
	v_mfma_f32_16x16x32_fp8_fp8 v[12:15], a[84:85], a[52:53], v[12:15]// 000000004404: D3F3000C 1C326954
	v_mfma_f32_16x16x32_fp8_fp8 v[12:15], a[86:87], a[54:55], v[12:15]// 00000000440C: D3F3000C 1C326D56
	v_fma_f32 v64, v8, v4, v64                                 // 000000004414: D1CB0040 05020908
	v_fma_f32 v65, v9, v4, v65                                 // 00000000441C: D1CB0041 05060909
	v_fma_f32 v66, v10, v4, v66                                // 000000004424: D1CB0042 050A090A
	v_fma_f32 v67, v11, v4, v67                                // 00000000442C: D1CB0043 050E090B
	v_mul_f32_dpp v4, v24, v45 row_newbcast:0 row_mask:0xf bank_mask:0xf// 000000004434: 0A085AFA FF015018
	v_mfma_f32_16x16x32_fp8_fp8 v[8:11], a[80:81], a[56:57], 0 // 00000000443C: D3F30008 1A027150
	v_mfma_f32_16x16x32_fp8_fp8 v[8:11], a[82:83], a[58:59], v[8:11]// 000000004444: D3F30008 1C227552
	buffer_load_dwordx4 a[120:123], v59, s[84:87], 0 offen     // 00000000444C: E05C1000 8095783B
	v_mfma_f32_16x16x32_fp8_fp8 v[8:11], a[84:85], a[60:61], v[8:11]// 000000004454: D3F30008 1C227954
	v_mfma_f32_16x16x32_fp8_fp8 v[8:11], a[86:87], a[62:63], v[8:11]// 00000000445C: D3F30008 1C227D56
	v_fma_f32 v68, v12, v6, v68                                // 000000004464: D1CB0044 05120D0C
	v_fma_f32 v69, v13, v6, v69                                // 00000000446C: D1CB0045 05160D0D
	v_fma_f32 v70, v14, v6, v70                                // 000000004474: D1CB0046 051A0D0E
	v_fma_f32 v71, v15, v6, v71                                // 00000000447C: D1CB0047 051E0D0F
	v_mul_f32_dpp v6, v24, v46 row_newbcast:0 row_mask:0xf bank_mask:0xf// 000000004484: 0A0C5CFA FF015018
	v_mfma_f32_16x16x32_fp8_fp8 v[12:15], a[80:81], a[64:65], 0// 00000000448C: D3F3000C 1A028150
	v_mfma_f32_16x16x32_fp8_fp8 v[12:15], a[82:83], a[66:67], v[12:15]// 000000004494: D3F3000C 1C328552
	buffer_load_dwordx4 a[124:127], v59, s[84:87], 0 offen offset:1024// 00000000449C: E05C1400 80957C3B
	v_mfma_f32_16x16x32_fp8_fp8 v[12:15], a[84:85], a[68:69], v[12:15]// 0000000044A4: D3F3000C 1C328954
	v_mfma_f32_16x16x32_fp8_fp8 v[12:15], a[86:87], a[70:71], v[12:15]// 0000000044AC: D3F3000C 1C328D56
	v_fma_f32 v72, v8, v4, v72                                 // 0000000044B4: D1CB0048 05220908
	v_fma_f32 v73, v9, v4, v73                                 // 0000000044BC: D1CB0049 05260909
	v_fma_f32 v74, v10, v4, v74                                // 0000000044C4: D1CB004A 052A090A
	v_fma_f32 v75, v11, v4, v75                                // 0000000044CC: D1CB004B 052E090B
	v_mul_f32_dpp v4, v24, v47 row_newbcast:0 row_mask:0xf bank_mask:0xf// 0000000044D4: 0A085EFA FF015018
	v_mfma_f32_16x16x32_fp8_fp8 v[8:11], a[80:81], a[72:73], 0 // 0000000044DC: D3F30008 1A029150
	v_mfma_f32_16x16x32_fp8_fp8 v[8:11], a[82:83], a[74:75], v[8:11]// 0000000044E4: D3F30008 1C229552
	buffer_load_dwordx4 a[128:131], v60, s[84:87], 0 offen     // 0000000044EC: E05C1000 8095803C
	v_mfma_f32_16x16x32_fp8_fp8 v[8:11], a[84:85], a[76:77], v[8:11]// 0000000044F4: D3F30008 1C229954
	v_mfma_f32_16x16x32_fp8_fp8 v[8:11], a[86:87], a[78:79], v[8:11]// 0000000044FC: D3F30008 1C229D56
	v_fma_f32 v76, v12, v6, v76                                // 000000004504: D1CB004C 05320D0C
	v_fma_f32 v77, v13, v6, v77                                // 00000000450C: D1CB004D 05360D0D
	v_fma_f32 v78, v14, v6, v78                                // 000000004514: D1CB004E 053A0D0E
	v_fma_f32 v79, v15, v6, v79                                // 00000000451C: D1CB004F 053E0D0F
	s_waitcnt vmcnt(10)                                        // 000000004524: BF8C0F7A
	v_mul_f32_dpp v6, v24, v43 row_newbcast:0 row_mask:0xf bank_mask:0xf// 000000004528: 0A0C56FA FF015018
	v_mfma_f32_16x16x32_fp8_fp8 v[12:15], a[88:89], a[40:41], 0// 000000004530: D3F3000C 1A025158
	v_mfma_f32_16x16x32_fp8_fp8 v[12:15], a[90:91], a[42:43], v[12:15]// 000000004538: D3F3000C 1C32555A
	buffer_load_dwordx4 a[132:135], v60, s[84:87], 0 offen offset:1024// 000000004540: E05C1400 8095843C
	v_mfma_f32_16x16x32_fp8_fp8 v[12:15], a[92:93], a[44:45], v[12:15]// 000000004548: D3F3000C 1C32595C
	v_mfma_f32_16x16x32_fp8_fp8 v[12:15], a[94:95], a[46:47], v[12:15]// 000000004550: D3F3000C 1C325D5E
	v_fma_f32 v80, v8, v4, v80                                 // 000000004558: D1CB0050 05420908
	v_fma_f32 v81, v9, v4, v81                                 // 000000004560: D1CB0051 05460909
	v_fma_f32 v82, v10, v4, v82                                // 000000004568: D1CB0052 054A090A
	v_fma_f32 v83, v11, v4, v83                                // 000000004570: D1CB0053 054E090B
	v_mul_f32_dpp v4, v24, v44 row_newbcast:0 row_mask:0xf bank_mask:0xf// 000000004578: 0A0858FA FF015018
	v_mfma_f32_16x16x32_fp8_fp8 v[8:11], a[88:89], a[48:49], 0 // 000000004580: D3F30008 1A026158
	v_mfma_f32_16x16x32_fp8_fp8 v[8:11], a[90:91], a[50:51], v[8:11]// 000000004588: D3F30008 1C22655A
	buffer_load_dwordx4 a[136:139], v61, s[84:87], 0 offen     // 000000004590: E05C1000 8095883D
	v_mfma_f32_16x16x32_fp8_fp8 v[8:11], a[92:93], a[52:53], v[8:11]// 000000004598: D3F30008 1C22695C
	v_mfma_f32_16x16x32_fp8_fp8 v[8:11], a[94:95], a[54:55], v[8:11]// 0000000045A0: D3F30008 1C226D5E
	v_fma_f32 v84, v12, v6, v84                                // 0000000045A8: D1CB0054 05520D0C
	v_fma_f32 v85, v13, v6, v85                                // 0000000045B0: D1CB0055 05560D0D
	v_fma_f32 v86, v14, v6, v86                                // 0000000045B8: D1CB0056 055A0D0E
	v_fma_f32 v87, v15, v6, v87                                // 0000000045C0: D1CB0057 055E0D0F
	v_mul_f32_dpp v6, v24, v45 row_newbcast:0 row_mask:0xf bank_mask:0xf// 0000000045C8: 0A0C5AFA FF015018
	v_mfma_f32_16x16x32_fp8_fp8 v[12:15], a[88:89], a[56:57], 0// 0000000045D0: D3F3000C 1A027158
	v_mfma_f32_16x16x32_fp8_fp8 v[12:15], a[90:91], a[58:59], v[12:15]// 0000000045D8: D3F3000C 1C32755A
	buffer_load_dwordx4 a[140:143], v61, s[84:87], 0 offen offset:1024// 0000000045E0: E05C1400 80958C3D
	buffer_load_dword v48, s[20:23], 0 offen lds               // 0000000045E8: E0511000 80050030
	s_add_u32 m0, 0x100, s49                                   // 0000000045F0: 807C31FF 00000100
	v_mfma_f32_16x16x32_fp8_fp8 v[12:15], a[92:93], a[60:61], v[12:15]// 0000000045F8: D3F3000C 1C32795C
	v_mfma_f32_16x16x32_fp8_fp8 v[12:15], a[94:95], a[62:63], v[12:15]// 000000004600: D3F3000C 1C327D5E
	buffer_load_dword v49, s[20:23], 0 offen lds               // 000000004608: E0511000 80050031
	s_add_u32 m0, 0x200, s49                                   // 000000004610: 807C31FF 00000200
	v_fma_f32 v88, v8, v4, v88                                 // 000000004618: D1CB0058 05620908
	v_fma_f32 v89, v9, v4, v89                                 // 000000004620: D1CB0059 05660909
	v_fma_f32 v90, v10, v4, v90                                // 000000004628: D1CB005A 056A090A
	v_fma_f32 v91, v11, v4, v91                                // 000000004630: D1CB005B 056E090B
	v_mul_f32_dpp v4, v24, v46 row_newbcast:0 row_mask:0xf bank_mask:0xf// 000000004638: 0A085CFA FF015018
	v_mfma_f32_16x16x32_fp8_fp8 v[8:11], a[88:89], a[64:65], 0 // 000000004640: D3F30008 1A028158
	v_mfma_f32_16x16x32_fp8_fp8 v[8:11], a[90:91], a[66:67], v[8:11]// 000000004648: D3F30008 1C22855A
	buffer_load_dword v50, s[20:23], 0 offen lds               // 000000004650: E0511000 80050032
	s_add_u32 m0, 0x300, s49                                   // 000000004658: 807C31FF 00000300
	v_mfma_f32_16x16x32_fp8_fp8 v[8:11], a[92:93], a[68:69], v[8:11]// 000000004660: D3F30008 1C22895C
	v_mfma_f32_16x16x32_fp8_fp8 v[8:11], a[94:95], a[70:71], v[8:11]// 000000004668: D3F30008 1C228D5E
	buffer_load_dword v51, s[20:23], 0 offen lds               // 000000004670: E0511000 80050033
	s_add_u32 m0, 0x400, s49                                   // 000000004678: 807C31FF 00000400
	v_fma_f32 v92, v12, v6, v92                                // 000000004680: D1CB005C 05720D0C
	v_fma_f32 v93, v13, v6, v93                                // 000000004688: D1CB005D 05760D0D
	v_fma_f32 v94, v14, v6, v94                                // 000000004690: D1CB005E 057A0D0E
	v_fma_f32 v95, v15, v6, v95                                // 000000004698: D1CB005F 057E0D0F
	v_mul_f32_dpp v6, v24, v47 row_newbcast:0 row_mask:0xf bank_mask:0xf// 0000000046A0: 0A0C5EFA FF015018
	v_mfma_f32_16x16x32_fp8_fp8 v[12:15], a[88:89], a[72:73], 0// 0000000046A8: D3F3000C 1A029158
	v_mfma_f32_16x16x32_fp8_fp8 v[12:15], a[90:91], a[74:75], v[12:15]// 0000000046B0: D3F3000C 1C32955A
	buffer_load_dword v52, s[20:23], 0 offen lds               // 0000000046B8: E0511000 80050034
	s_add_u32 m0, 0x500, s49                                   // 0000000046C0: 807C31FF 00000500
	v_mfma_f32_16x16x32_fp8_fp8 v[12:15], a[92:93], a[76:77], v[12:15]// 0000000046C8: D3F3000C 1C32995C
	v_mfma_f32_16x16x32_fp8_fp8 v[12:15], a[94:95], a[78:79], v[12:15]// 0000000046D0: D3F3000C 1C329D5E
	buffer_load_dword v53, s[20:23], 0 offen lds               // 0000000046D8: E0511000 80050035
	s_add_u32 m0, 0x600, s49                                   // 0000000046E0: 807C31FF 00000600
	v_fma_f32 v96, v8, v4, v96                                 // 0000000046E8: D1CB0060 05820908
	v_fma_f32 v97, v9, v4, v97                                 // 0000000046F0: D1CB0061 05860909
	v_fma_f32 v98, v10, v4, v98                                // 0000000046F8: D1CB0062 058A090A
	v_fma_f32 v99, v11, v4, v99                                // 000000004700: D1CB0063 058E090B
	s_waitcnt vmcnt(17)                                        // 000000004708: BF8C4F71
	v_mul_f32_dpp v4, v24, v43 row_newbcast:1 row_mask:0xf bank_mask:0xf// 00000000470C: 0A0856FA FF015118
	v_mfma_f32_16x16x32_fp8_fp8 v[8:11], a[96:97], a[40:41], 0 // 000000004714: D3F30008 1A025160
	v_mfma_f32_16x16x32_fp8_fp8 v[8:11], a[98:99], a[42:43], v[8:11]// 00000000471C: D3F30008 1C225562
	buffer_load_dword v54, s[20:23], 0 offen lds               // 000000004724: E0511000 80050036
	s_add_u32 m0, 0x700, s49                                   // 00000000472C: 807C31FF 00000700
	v_mfma_f32_16x16x32_fp8_fp8 v[8:11], a[100:101], a[44:45], v[8:11]// 000000004734: D3F30008 1C225964
	v_mfma_f32_16x16x32_fp8_fp8 v[8:11], a[102:103], a[46:47], v[8:11]// 00000000473C: D3F30008 1C225D66
	buffer_load_dword v55, s[20:23], 0 offen lds               // 000000004744: E0511000 80050037
	s_add_u32 m0, 0x800, s49                                   // 00000000474C: 807C31FF 00000800
	v_fma_f32 v100, v12, v6, v100                              // 000000004754: D1CB0064 05920D0C
	v_fma_f32 v101, v13, v6, v101                              // 00000000475C: D1CB0065 05960D0D
	v_fma_f32 v102, v14, v6, v102                              // 000000004764: D1CB0066 059A0D0E
	v_fma_f32 v103, v15, v6, v103                              // 00000000476C: D1CB0067 059E0D0F
	v_mul_f32_dpp v6, v24, v44 row_newbcast:1 row_mask:0xf bank_mask:0xf// 000000004774: 0A0C58FA FF015118
	v_mfma_f32_16x16x32_fp8_fp8 v[12:15], a[96:97], a[48:49], 0// 00000000477C: D3F3000C 1A026160
	v_mfma_f32_16x16x32_fp8_fp8 v[12:15], a[98:99], a[50:51], v[12:15]// 000000004784: D3F3000C 1C326562
	buffer_load_dword v56, s[20:23], 0 offen lds               // 00000000478C: E0511000 80050038
	s_add_u32 m0, 0x900, s49                                   // 000000004794: 807C31FF 00000900
	v_mfma_f32_16x16x32_fp8_fp8 v[12:15], a[100:101], a[52:53], v[12:15]// 00000000479C: D3F3000C 1C326964
	v_mfma_f32_16x16x32_fp8_fp8 v[12:15], a[102:103], a[54:55], v[12:15]// 0000000047A4: D3F3000C 1C326D66
	buffer_load_dword v57, s[20:23], 0 offen lds               // 0000000047AC: E0511000 80050039
	s_add_u32 m0, 0, s48                                       // 0000000047B4: 807C3080
	v_fma_f32 v104, v8, v4, v104                               // 0000000047B8: D1CB0068 05A20908
	v_fma_f32 v105, v9, v4, v105                               // 0000000047C0: D1CB0069 05A60909
	v_fma_f32 v106, v10, v4, v106                              // 0000000047C8: D1CB006A 05AA090A
	v_fma_f32 v107, v11, v4, v107                              // 0000000047D0: D1CB006B 05AE090B
	v_mul_f32_dpp v4, v24, v45 row_newbcast:1 row_mask:0xf bank_mask:0xf// 0000000047D8: 0A085AFA FF015118
	v_mfma_f32_16x16x32_fp8_fp8 v[8:11], a[96:97], a[56:57], 0 // 0000000047E0: D3F30008 1A027160
	v_mfma_f32_16x16x32_fp8_fp8 v[8:11], a[98:99], a[58:59], v[8:11]// 0000000047E8: D3F30008 1C227562
	buffer_load_dword v38, v28, s[28:31], 0 offen              // 0000000047F0: E0501000 8007261C
	v_mfma_f32_16x16x32_fp8_fp8 v[8:11], a[100:101], a[60:61], v[8:11]// 0000000047F8: D3F30008 1C227964
	v_mfma_f32_16x16x32_fp8_fp8 v[8:11], a[102:103], a[62:63], v[8:11]// 000000004800: D3F30008 1C227D66
	buffer_load_dword v39, v29, s[28:31], 0 offen              // 000000004808: E0501000 8007271D
	v_fma_f32 v108, v12, v6, v108                              // 000000004810: D1CB006C 05B20D0C
	v_fma_f32 v109, v13, v6, v109                              // 000000004818: D1CB006D 05B60D0D
	v_fma_f32 v110, v14, v6, v110                              // 000000004820: D1CB006E 05BA0D0E
	v_fma_f32 v111, v15, v6, v111                              // 000000004828: D1CB006F 05BE0D0F
	v_mul_f32_dpp v6, v24, v46 row_newbcast:1 row_mask:0xf bank_mask:0xf// 000000004830: 0A0C5CFA FF015118
	v_mfma_f32_16x16x32_fp8_fp8 v[12:15], a[96:97], a[64:65], 0// 000000004838: D3F3000C 1A028160
	v_mfma_f32_16x16x32_fp8_fp8 v[12:15], a[98:99], a[66:67], v[12:15]// 000000004840: D3F3000C 1C328562
	buffer_load_dword v40, v30, s[28:31], 0 offen              // 000000004848: E0501000 8007281E
	v_mfma_f32_16x16x32_fp8_fp8 v[12:15], a[100:101], a[68:69], v[12:15]// 000000004850: D3F3000C 1C328964
	v_mfma_f32_16x16x32_fp8_fp8 v[12:15], a[102:103], a[70:71], v[12:15]// 000000004858: D3F3000C 1C328D66
	buffer_load_dword v41, v31, s[28:31], 0 offen              // 000000004860: E0501000 8007291F
	v_fma_f32 v112, v8, v4, v112                               // 000000004868: D1CB0070 05C20908
	v_fma_f32 v113, v9, v4, v113                               // 000000004870: D1CB0071 05C60909
	v_fma_f32 v114, v10, v4, v114                              // 000000004878: D1CB0072 05CA090A
	v_fma_f32 v115, v11, v4, v115                              // 000000004880: D1CB0073 05CE090B
	v_mul_f32_dpp v4, v24, v47 row_newbcast:1 row_mask:0xf bank_mask:0xf// 000000004888: 0A085EFA FF015118
	v_mfma_f32_16x16x32_fp8_fp8 v[8:11], a[96:97], a[72:73], 0 // 000000004890: D3F30008 1A029160
	v_mfma_f32_16x16x32_fp8_fp8 v[8:11], a[98:99], a[74:75], v[8:11]// 000000004898: D3F30008 1C229562
	buffer_load_dword v42, v32, s[28:31], 0 offen              // 0000000048A0: E0501000 80072A20
	v_mfma_f32_16x16x32_fp8_fp8 v[8:11], a[100:101], a[76:77], v[8:11]// 0000000048A8: D3F30008 1C229964
	v_mfma_f32_16x16x32_fp8_fp8 v[8:11], a[102:103], a[78:79], v[8:11]// 0000000048B0: D3F30008 1C229D66
	v_fma_f32 v116, v12, v6, v116                              // 0000000048B8: D1CB0074 05D20D0C
	v_fma_f32 v117, v13, v6, v117                              // 0000000048C0: D1CB0075 05D60D0D
	v_fma_f32 v118, v14, v6, v118                              // 0000000048C8: D1CB0076 05DA0D0E
	v_fma_f32 v119, v15, v6, v119                              // 0000000048D0: D1CB0077 05DE0D0F
	s_waitcnt vmcnt(24)                                        // 0000000048D8: BF8C4F78
	v_mul_f32_dpp v6, v24, v43 row_newbcast:1 row_mask:0xf bank_mask:0xf// 0000000048DC: 0A0C56FA FF015118
	v_mfma_f32_16x16x32_fp8_fp8 v[12:15], a[104:105], a[40:41], 0// 0000000048E4: D3F3000C 1A025168
	v_mfma_f32_16x16x32_fp8_fp8 v[12:15], a[106:107], a[42:43], v[12:15]// 0000000048EC: D3F3000C 1C32556A
	v_mfma_f32_16x16x32_fp8_fp8 v[12:15], a[108:109], a[44:45], v[12:15]// 0000000048F4: D3F3000C 1C32596C
	v_mfma_f32_16x16x32_fp8_fp8 v[12:15], a[110:111], a[46:47], v[12:15]// 0000000048FC: D3F3000C 1C325D6E
	v_fma_f32 v120, v8, v4, v120                               // 000000004904: D1CB0078 05E20908
	v_fma_f32 v121, v9, v4, v121                               // 00000000490C: D1CB0079 05E60909
	v_fma_f32 v122, v10, v4, v122                              // 000000004914: D1CB007A 05EA090A
	v_fma_f32 v123, v11, v4, v123                              // 00000000491C: D1CB007B 05EE090B
	v_mul_f32_dpp v4, v24, v44 row_newbcast:1 row_mask:0xf bank_mask:0xf// 000000004924: 0A0858FA FF015118
	v_mfma_f32_16x16x32_fp8_fp8 v[8:11], a[104:105], a[48:49], 0// 00000000492C: D3F30008 1A026168
	v_mfma_f32_16x16x32_fp8_fp8 v[8:11], a[106:107], a[50:51], v[8:11]// 000000004934: D3F30008 1C22656A
	v_mfma_f32_16x16x32_fp8_fp8 v[8:11], a[108:109], a[52:53], v[8:11]// 00000000493C: D3F30008 1C22696C
	v_mfma_f32_16x16x32_fp8_fp8 v[8:11], a[110:111], a[54:55], v[8:11]// 000000004944: D3F30008 1C226D6E
	v_fma_f32 v124, v12, v6, v124                              // 00000000494C: D1CB007C 05F20D0C
	v_fma_f32 v125, v13, v6, v125                              // 000000004954: D1CB007D 05F60D0D
	v_fma_f32 v126, v14, v6, v126                              // 00000000495C: D1CB007E 05FA0D0E
	v_fma_f32 v127, v15, v6, v127                              // 000000004964: D1CB007F 05FE0D0F
	v_mul_f32_dpp v6, v24, v45 row_newbcast:1 row_mask:0xf bank_mask:0xf// 00000000496C: 0A0C5AFA FF015118
	v_mfma_f32_16x16x32_fp8_fp8 v[12:15], a[104:105], a[56:57], 0// 000000004974: D3F3000C 1A027168
	v_mfma_f32_16x16x32_fp8_fp8 v[12:15], a[106:107], a[58:59], v[12:15]// 00000000497C: D3F3000C 1C32756A
	v_mfma_f32_16x16x32_fp8_fp8 v[12:15], a[108:109], a[60:61], v[12:15]// 000000004984: D3F3000C 1C32796C
	v_mfma_f32_16x16x32_fp8_fp8 v[12:15], a[110:111], a[62:63], v[12:15]// 00000000498C: D3F3000C 1C327D6E
	v_fma_f32 v128, v8, v4, v128                               // 000000004994: D1CB0080 06020908
	v_fma_f32 v129, v9, v4, v129                               // 00000000499C: D1CB0081 06060909
	v_fma_f32 v130, v10, v4, v130                              // 0000000049A4: D1CB0082 060A090A
	v_fma_f32 v131, v11, v4, v131                              // 0000000049AC: D1CB0083 060E090B
	v_mul_f32_dpp v4, v24, v46 row_newbcast:1 row_mask:0xf bank_mask:0xf// 0000000049B4: 0A085CFA FF015118
	v_mfma_f32_16x16x32_fp8_fp8 v[8:11], a[104:105], a[64:65], 0// 0000000049BC: D3F30008 1A028168
	v_mfma_f32_16x16x32_fp8_fp8 v[8:11], a[106:107], a[66:67], v[8:11]// 0000000049C4: D3F30008 1C22856A
	v_mfma_f32_16x16x32_fp8_fp8 v[8:11], a[108:109], a[68:69], v[8:11]// 0000000049CC: D3F30008 1C22896C
	v_mfma_f32_16x16x32_fp8_fp8 v[8:11], a[110:111], a[70:71], v[8:11]// 0000000049D4: D3F30008 1C228D6E
	v_fma_f32 v132, v12, v6, v132                              // 0000000049DC: D1CB0084 06120D0C
	v_fma_f32 v133, v13, v6, v133                              // 0000000049E4: D1CB0085 06160D0D
	v_fma_f32 v134, v14, v6, v134                              // 0000000049EC: D1CB0086 061A0D0E
	v_fma_f32 v135, v15, v6, v135                              // 0000000049F4: D1CB0087 061E0D0F
	v_mul_f32_dpp v6, v24, v47 row_newbcast:1 row_mask:0xf bank_mask:0xf// 0000000049FC: 0A0C5EFA FF015118
	v_mfma_f32_16x16x32_fp8_fp8 v[12:15], a[104:105], a[72:73], 0// 000000004A04: D3F3000C 1A029168
	v_mfma_f32_16x16x32_fp8_fp8 v[12:15], a[106:107], a[74:75], v[12:15]// 000000004A0C: D3F3000C 1C32956A
	s_add_u32 s60, 0x80, s80                                   // 000000004A14: 803C50FF 00000080
	s_cmp_lt_u32 s60, s81                                      // 000000004A1C: BF0A513C
	s_cselect_b32 s83, s83, 0                                  // 000000004A20: 85538053
	s_cselect_b32 s4, s4, 0                                    // 000000004A24: 85048004
	v_mfma_f32_16x16x32_fp8_fp8 v[12:15], a[108:109], a[76:77], v[12:15]// 000000004A28: D3F3000C 1C32996C
	s_add_u32 s32, s4, s32                                     // 000000004A30: 80202004
	s_addc_u32 s33, 0, s33                                     // 000000004A34: 82212180
	v_mfma_f32_16x16x32_fp8_fp8 v[12:15], a[110:111], a[78:79], v[12:15]// 000000004A38: D3F3000C 1C329D6E
	v_fma_f32 v136, v8, v4, v136                               // 000000004A40: D1CB0088 06220908
	v_fma_f32 v137, v9, v4, v137                               // 000000004A48: D1CB0089 06260909
	v_fma_f32 v138, v10, v4, v138                              // 000000004A50: D1CB008A 062A090A
	v_fma_f32 v139, v11, v4, v139                              // 000000004A58: D1CB008B 062E090B
	v_fma_f32 v140, v12, v6, v140                              // 000000004A60: D1CB008C 06320D0C
	v_fma_f32 v141, v13, v6, v141                              // 000000004A68: D1CB008D 06360D0D
	v_fma_f32 v142, v14, v6, v142                              // 000000004A70: D1CB008E 063A0D0E
	v_fma_f32 v143, v15, v6, v143                              // 000000004A78: D1CB008F 063E0D0F
	s_waitcnt vmcnt(15)                                        // 000000004A80: BF8C0F7F
	v_mul_f32_dpp v4, v27, v43 row_newbcast:0 row_mask:0xf bank_mask:0xf// 000000004A84: 0A0856FA FF01501B
	v_mfma_f32_16x16x32_fp8_fp8 v[8:11], a[112:113], a[40:41], 0// 000000004A8C: D3F30008 1A025170
	buffer_load_dword v24, v22, s[32:35], 0 offen              // 000000004A94: E0501000 80081816
	v_mfma_f32_16x16x32_fp8_fp8 v[8:11], a[114:115], a[42:43], v[8:11]// 000000004A9C: D3F30008 1C225572
	buffer_load_dwordx4 a[80:83], v58, s[24:27], 0 offen       // 000000004AA4: E05C1000 8086503A
	v_mfma_f32_16x16x32_fp8_fp8 v[8:11], a[116:117], a[44:45], v[8:11]// 000000004AAC: D3F30008 1C225974
	v_mfma_f32_16x16x32_fp8_fp8 v[8:11], a[118:119], a[46:47], v[8:11]// 000000004AB4: D3F30008 1C225D76
	ds_read_b128 a[0:3], v2                                    // 000000004ABC: DBFE0000 00000002
	ds_read_b128 a[4:7], v2 offset:64                          // 000000004AC4: DBFE0040 04000002
	v_mfma_f32_16x16x32_fp8_fp8 v[12:15], a[120:121], a[40:41], 0// 000000004ACC: D3F3000C 1A025178
	v_mfma_f32_16x16x32_fp8_fp8 v[12:15], a[122:123], a[42:43], v[12:15]// 000000004AD4: D3F3000C 1C32557A
	buffer_load_dwordx4 a[84:87], v58, s[24:27], 0 offen offset:1024// 000000004ADC: E05C1400 8086543A
	v_mfma_f32_16x16x32_fp8_fp8 v[12:15], a[124:125], a[44:45], v[12:15]// 000000004AE4: D3F3000C 1C32597C
	v_mfma_f32_16x16x32_fp8_fp8 v[12:15], a[126:127], a[46:47], v[12:15]// 000000004AEC: D3F3000C 1C325D7E
	ds_read_b128 a[8:11], v2 offset:512                        // 000000004AF4: DBFE0200 08000002
	ds_read_b128 a[12:15], v2 offset:576                       // 000000004AFC: DBFE0240 0C000002
	v_fma_f32 v144, v8, v4, v144                               // 000000004B04: D1CB0090 06420908
	v_fma_f32 v145, v9, v4, v145                               // 000000004B0C: D1CB0091 06460909
	v_fma_f32 v146, v10, v4, v146                              // 000000004B14: D1CB0092 064A090A
	v_fma_f32 v147, v11, v4, v147                              // 000000004B1C: D1CB0093 064E090B
	v_mul_f32_dpp v6, v27, v43 row_newbcast:1 row_mask:0xf bank_mask:0xf// 000000004B24: 0A0C56FA FF01511B
	v_mfma_f32_16x16x32_fp8_fp8 v[8:11], a[128:129], a[40:41], 0// 000000004B2C: D3F30008 1A025180
	v_mfma_f32_16x16x32_fp8_fp8 v[8:11], a[130:131], a[42:43], v[8:11]// 000000004B34: D3F30008 1C225582
	buffer_load_dwordx4 a[88:91], v59, s[24:27], 0 offen       // 000000004B3C: E05C1000 8086583B
	v_mfma_f32_16x16x32_fp8_fp8 v[8:11], a[132:133], a[44:45], v[8:11]// 000000004B44: D3F30008 1C225984
	v_mfma_f32_16x16x32_fp8_fp8 v[8:11], a[134:135], a[46:47], v[8:11]// 000000004B4C: D3F30008 1C225D86
	ds_read_b128 a[16:19], v2 offset:1024                      // 000000004B54: DBFE0400 10000002
	ds_read_b128 a[20:23], v2 offset:1088                      // 000000004B5C: DBFE0440 14000002
	v_fma_f32 v164, v12, v4, v164                              // 000000004B64: D1CB00A4 0692090C
	v_fma_f32 v165, v13, v4, v165                              // 000000004B6C: D1CB00A5 0696090D
	v_fma_f32 v166, v14, v4, v166                              // 000000004B74: D1CB00A6 069A090E
	v_fma_f32 v167, v15, v4, v167                              // 000000004B7C: D1CB00A7 069E090F
	v_mfma_f32_16x16x32_fp8_fp8 v[12:15], a[136:137], a[40:41], 0// 000000004B84: D3F3000C 1A025188
	v_mfma_f32_16x16x32_fp8_fp8 v[12:15], a[138:139], a[42:43], v[12:15]// 000000004B8C: D3F3000C 1C32558A
	buffer_load_dwordx4 a[92:95], v59, s[24:27], 0 offen offset:1024// 000000004B94: E05C1400 80865C3B
	v_mfma_f32_16x16x32_fp8_fp8 v[12:15], a[140:141], a[44:45], v[12:15]// 000000004B9C: D3F3000C 1C32598C
	v_mfma_f32_16x16x32_fp8_fp8 v[12:15], a[142:143], a[46:47], v[12:15]// 000000004BA4: D3F3000C 1C325D8E
	ds_read_b128 a[24:27], v2 offset:1536                      // 000000004BAC: DBFE0600 18000002
	ds_read_b128 a[28:31], v2 offset:1600                      // 000000004BB4: DBFE0640 1C000002
	v_fma_f32 v184, v8, v6, v184                               // 000000004BBC: D1CB00B8 06E20D08
	v_fma_f32 v185, v9, v6, v185                               // 000000004BC4: D1CB00B9 06E60D09
	v_fma_f32 v186, v10, v6, v186                              // 000000004BCC: D1CB00BA 06EA0D0A
	v_fma_f32 v187, v11, v6, v187                              // 000000004BD4: D1CB00BB 06EE0D0B
	v_mul_f32_dpp v4, v27, v44 row_newbcast:0 row_mask:0xf bank_mask:0xf// 000000004BDC: 0A0858FA FF01501B
	v_mfma_f32_16x16x32_fp8_fp8 v[8:11], a[112:113], a[48:49], 0// 000000004BE4: D3F30008 1A026170
	v_mfma_f32_16x16x32_fp8_fp8 v[8:11], a[114:115], a[50:51], v[8:11]// 000000004BEC: D3F30008 1C226572
	buffer_load_dwordx4 a[96:99], v60, s[24:27], 0 offen       // 000000004BF4: E05C1000 8086603C
	v_mfma_f32_16x16x32_fp8_fp8 v[8:11], a[116:117], a[52:53], v[8:11]// 000000004BFC: D3F30008 1C226974
	v_mfma_f32_16x16x32_fp8_fp8 v[8:11], a[118:119], a[54:55], v[8:11]// 000000004C04: D3F30008 1C226D76
	ds_read_b128 a[32:35], v2 offset:2048                      // 000000004C0C: DBFE0800 20000002
	ds_read_b128 a[36:39], v2 offset:2112                      // 000000004C14: DBFE0840 24000002
	v_fma_f32 v204, v12, v6, v204                              // 000000004C1C: D1CB00CC 07320D0C
	v_fma_f32 v205, v13, v6, v205                              // 000000004C24: D1CB00CD 07360D0D
	v_fma_f32 v206, v14, v6, v206                              // 000000004C2C: D1CB00CE 073A0D0E
	v_fma_f32 v207, v15, v6, v207                              // 000000004C34: D1CB00CF 073E0D0F
	v_mfma_f32_16x16x32_fp8_fp8 v[12:15], a[120:121], a[48:49], 0// 000000004C3C: D3F3000C 1A026178
	v_mfma_f32_16x16x32_fp8_fp8 v[12:15], a[122:123], a[50:51], v[12:15]// 000000004C44: D3F3000C 1C32657A
	buffer_load_dwordx4 a[100:103], v60, s[24:27], 0 offen offset:1024// 000000004C4C: E05C1400 8086643C
	v_mfma_f32_16x16x32_fp8_fp8 v[12:15], a[124:125], a[52:53], v[12:15]// 000000004C54: D3F3000C 1C32697C
	v_mfma_f32_16x16x32_fp8_fp8 v[12:15], a[126:127], a[54:55], v[12:15]// 000000004C5C: D3F3000C 1C326D7E
	v_fma_f32 v148, v8, v4, v148                               // 000000004C64: D1CB0094 06520908
	v_fma_f32 v149, v9, v4, v149                               // 000000004C6C: D1CB0095 06560909
	v_fma_f32 v150, v10, v4, v150                              // 000000004C74: D1CB0096 065A090A
	v_fma_f32 v151, v11, v4, v151                              // 000000004C7C: D1CB0097 065E090B
	v_mul_f32_dpp v6, v27, v44 row_newbcast:1 row_mask:0xf bank_mask:0xf// 000000004C84: 0A0C58FA FF01511B
	v_mfma_f32_16x16x32_fp8_fp8 v[8:11], a[128:129], a[48:49], 0// 000000004C8C: D3F30008 1A026180
	v_mfma_f32_16x16x32_fp8_fp8 v[8:11], a[130:131], a[50:51], v[8:11]// 000000004C94: D3F30008 1C226582
	buffer_load_dwordx4 a[104:107], v61, s[24:27], 0 offen     // 000000004C9C: E05C1000 8086683D
	v_mfma_f32_16x16x32_fp8_fp8 v[8:11], a[132:133], a[52:53], v[8:11]// 000000004CA4: D3F30008 1C226984
	v_mfma_f32_16x16x32_fp8_fp8 v[8:11], a[134:135], a[54:55], v[8:11]// 000000004CAC: D3F30008 1C226D86
	v_fma_f32 v168, v12, v4, v168                              // 000000004CB4: D1CB00A8 06A2090C
	v_fma_f32 v169, v13, v4, v169                              // 000000004CBC: D1CB00A9 06A6090D
	v_fma_f32 v170, v14, v4, v170                              // 000000004CC4: D1CB00AA 06AA090E
	v_fma_f32 v171, v15, v4, v171                              // 000000004CCC: D1CB00AB 06AE090F
	v_mfma_f32_16x16x32_fp8_fp8 v[12:15], a[136:137], a[48:49], 0// 000000004CD4: D3F3000C 1A026188
	v_mfma_f32_16x16x32_fp8_fp8 v[12:15], a[138:139], a[50:51], v[12:15]// 000000004CDC: D3F3000C 1C32658A
	buffer_load_dwordx4 a[108:111], v61, s[24:27], 0 offen offset:1024// 000000004CE4: E05C1400 80866C3D
	v_mfma_f32_16x16x32_fp8_fp8 v[12:15], a[140:141], a[52:53], v[12:15]// 000000004CEC: D3F3000C 1C32698C
	v_mfma_f32_16x16x32_fp8_fp8 v[12:15], a[142:143], a[54:55], v[12:15]// 000000004CF4: D3F3000C 1C326D8E
	v_fma_f32 v188, v8, v6, v188                               // 000000004CFC: D1CB00BC 06F20D08
	v_fma_f32 v189, v9, v6, v189                               // 000000004D04: D1CB00BD 06F60D09
	v_fma_f32 v190, v10, v6, v190                              // 000000004D0C: D1CB00BE 06FA0D0A
	v_fma_f32 v191, v11, v6, v191                              // 000000004D14: D1CB00BF 06FE0D0B
	v_mul_f32_dpp v4, v27, v45 row_newbcast:0 row_mask:0xf bank_mask:0xf// 000000004D1C: 0A085AFA FF01501B
	v_mfma_f32_16x16x32_fp8_fp8 v[8:11], a[112:113], a[56:57], 0// 000000004D24: D3F30008 1A027170
	v_mfma_f32_16x16x32_fp8_fp8 v[8:11], a[114:115], a[58:59], v[8:11]// 000000004D2C: D3F30008 1C227572
	v_mfma_f32_16x16x32_fp8_fp8 v[8:11], a[116:117], a[60:61], v[8:11]// 000000004D34: D3F30008 1C227974
	v_mfma_f32_16x16x32_fp8_fp8 v[8:11], a[118:119], a[62:63], v[8:11]// 000000004D3C: D3F30008 1C227D76
	v_fma_f32 v208, v12, v6, v208                              // 000000004D44: D1CB00D0 07420D0C
	v_fma_f32 v209, v13, v6, v209                              // 000000004D4C: D1CB00D1 07460D0D
	v_fma_f32 v210, v14, v6, v210                              // 000000004D54: D1CB00D2 074A0D0E
	v_fma_f32 v211, v15, v6, v211                              // 000000004D5C: D1CB00D3 074E0D0F
	v_mfma_f32_16x16x32_fp8_fp8 v[12:15], a[120:121], a[56:57], 0// 000000004D64: D3F3000C 1A027178
	v_mfma_f32_16x16x32_fp8_fp8 v[12:15], a[122:123], a[58:59], v[12:15]// 000000004D6C: D3F3000C 1C32757A
	v_mfma_f32_16x16x32_fp8_fp8 v[12:15], a[124:125], a[60:61], v[12:15]// 000000004D74: D3F3000C 1C32797C
	v_mfma_f32_16x16x32_fp8_fp8 v[12:15], a[126:127], a[62:63], v[12:15]// 000000004D7C: D3F3000C 1C327D7E
	v_fma_f32 v152, v8, v4, v152                               // 000000004D84: D1CB0098 06620908
	v_fma_f32 v153, v9, v4, v153                               // 000000004D8C: D1CB0099 06660909
	v_fma_f32 v154, v10, v4, v154                              // 000000004D94: D1CB009A 066A090A
	v_fma_f32 v155, v11, v4, v155                              // 000000004D9C: D1CB009B 066E090B
	v_mul_f32_dpp v6, v27, v45 row_newbcast:1 row_mask:0xf bank_mask:0xf// 000000004DA4: 0A0C5AFA FF01511B
	v_mfma_f32_16x16x32_fp8_fp8 v[8:11], a[128:129], a[56:57], 0// 000000004DAC: D3F30008 1A027180
	v_mfma_f32_16x16x32_fp8_fp8 v[8:11], a[130:131], a[58:59], v[8:11]// 000000004DB4: D3F30008 1C227582
	v_mfma_f32_16x16x32_fp8_fp8 v[8:11], a[132:133], a[60:61], v[8:11]// 000000004DBC: D3F30008 1C227984
	v_mfma_f32_16x16x32_fp8_fp8 v[8:11], a[134:135], a[62:63], v[8:11]// 000000004DC4: D3F30008 1C227D86
	v_fma_f32 v172, v12, v4, v172                              // 000000004DCC: D1CB00AC 06B2090C
	v_fma_f32 v173, v13, v4, v173                              // 000000004DD4: D1CB00AD 06B6090D
	v_fma_f32 v174, v14, v4, v174                              // 000000004DDC: D1CB00AE 06BA090E
	v_fma_f32 v175, v15, v4, v175                              // 000000004DE4: D1CB00AF 06BE090F
	v_mfma_f32_16x16x32_fp8_fp8 v[12:15], a[136:137], a[56:57], 0// 000000004DEC: D3F3000C 1A027188
	v_mfma_f32_16x16x32_fp8_fp8 v[12:15], a[138:139], a[58:59], v[12:15]// 000000004DF4: D3F3000C 1C32758A
	v_mfma_f32_16x16x32_fp8_fp8 v[12:15], a[140:141], a[60:61], v[12:15]// 000000004DFC: D3F3000C 1C32798C
	v_mfma_f32_16x16x32_fp8_fp8 v[12:15], a[142:143], a[62:63], v[12:15]// 000000004E04: D3F3000C 1C327D8E
	v_fma_f32 v192, v8, v6, v192                               // 000000004E0C: D1CB00C0 07020D08
	v_fma_f32 v193, v9, v6, v193                               // 000000004E14: D1CB00C1 07060D09
	v_fma_f32 v194, v10, v6, v194                              // 000000004E1C: D1CB00C2 070A0D0A
	v_fma_f32 v195, v11, v6, v195                              // 000000004E24: D1CB00C3 070E0D0B
	v_mul_f32_dpp v4, v27, v46 row_newbcast:0 row_mask:0xf bank_mask:0xf// 000000004E2C: 0A085CFA FF01501B
	v_mfma_f32_16x16x32_fp8_fp8 v[8:11], a[112:113], a[64:65], 0// 000000004E34: D3F30008 1A028170
	v_mfma_f32_16x16x32_fp8_fp8 v[8:11], a[114:115], a[66:67], v[8:11]// 000000004E3C: D3F30008 1C228572
	v_mfma_f32_16x16x32_fp8_fp8 v[8:11], a[116:117], a[68:69], v[8:11]// 000000004E44: D3F30008 1C228974
	v_mfma_f32_16x16x32_fp8_fp8 v[8:11], a[118:119], a[70:71], v[8:11]// 000000004E4C: D3F30008 1C228D76
	v_fma_f32 v212, v12, v6, v212                              // 000000004E54: D1CB00D4 07520D0C
	v_fma_f32 v213, v13, v6, v213                              // 000000004E5C: D1CB00D5 07560D0D
	v_fma_f32 v214, v14, v6, v214                              // 000000004E64: D1CB00D6 075A0D0E
	v_fma_f32 v215, v15, v6, v215                              // 000000004E6C: D1CB00D7 075E0D0F
	v_mfma_f32_16x16x32_fp8_fp8 v[12:15], a[120:121], a[64:65], 0// 000000004E74: D3F3000C 1A028178
	v_mfma_f32_16x16x32_fp8_fp8 v[12:15], a[122:123], a[66:67], v[12:15]// 000000004E7C: D3F3000C 1C32857A
	v_mfma_f32_16x16x32_fp8_fp8 v[12:15], a[124:125], a[68:69], v[12:15]// 000000004E84: D3F3000C 1C32897C
	v_mfma_f32_16x16x32_fp8_fp8 v[12:15], a[126:127], a[70:71], v[12:15]// 000000004E8C: D3F3000C 1C328D7E
	v_fma_f32 v156, v8, v4, v156                               // 000000004E94: D1CB009C 06720908
	v_fma_f32 v157, v9, v4, v157                               // 000000004E9C: D1CB009D 06760909
	v_fma_f32 v158, v10, v4, v158                              // 000000004EA4: D1CB009E 067A090A
	v_fma_f32 v159, v11, v4, v159                              // 000000004EAC: D1CB009F 067E090B
	v_mul_f32_dpp v6, v27, v46 row_newbcast:1 row_mask:0xf bank_mask:0xf// 000000004EB4: 0A0C5CFA FF01511B
	v_mfma_f32_16x16x32_fp8_fp8 v[8:11], a[128:129], a[64:65], 0// 000000004EBC: D3F30008 1A028180
	v_mfma_f32_16x16x32_fp8_fp8 v[8:11], a[130:131], a[66:67], v[8:11]// 000000004EC4: D3F30008 1C228582
	v_mfma_f32_16x16x32_fp8_fp8 v[8:11], a[132:133], a[68:69], v[8:11]// 000000004ECC: D3F30008 1C228984
	v_mfma_f32_16x16x32_fp8_fp8 v[8:11], a[134:135], a[70:71], v[8:11]// 000000004ED4: D3F30008 1C228D86
	v_fma_f32 v176, v12, v4, v176                              // 000000004EDC: D1CB00B0 06C2090C
	v_fma_f32 v177, v13, v4, v177                              // 000000004EE4: D1CB00B1 06C6090D
	v_fma_f32 v178, v14, v4, v178                              // 000000004EEC: D1CB00B2 06CA090E
	v_fma_f32 v179, v15, v4, v179                              // 000000004EF4: D1CB00B3 06CE090F
	v_mfma_f32_16x16x32_fp8_fp8 v[12:15], a[136:137], a[64:65], 0// 000000004EFC: D3F3000C 1A028188
	v_mfma_f32_16x16x32_fp8_fp8 v[12:15], a[138:139], a[66:67], v[12:15]// 000000004F04: D3F3000C 1C32858A
	v_mfma_f32_16x16x32_fp8_fp8 v[12:15], a[140:141], a[68:69], v[12:15]// 000000004F0C: D3F3000C 1C32898C
	v_mfma_f32_16x16x32_fp8_fp8 v[12:15], a[142:143], a[70:71], v[12:15]// 000000004F14: D3F3000C 1C328D8E
	v_fma_f32 v196, v8, v6, v196                               // 000000004F1C: D1CB00C4 07120D08
	v_fma_f32 v197, v9, v6, v197                               // 000000004F24: D1CB00C5 07160D09
	v_fma_f32 v198, v10, v6, v198                              // 000000004F2C: D1CB00C6 071A0D0A
	v_fma_f32 v199, v11, v6, v199                              // 000000004F34: D1CB00C7 071E0D0B
	v_mul_f32_dpp v4, v27, v47 row_newbcast:0 row_mask:0xf bank_mask:0xf// 000000004F3C: 0A085EFA FF01501B
	v_mfma_f32_16x16x32_fp8_fp8 v[8:11], a[112:113], a[72:73], 0// 000000004F44: D3F30008 1A029170
	v_mfma_f32_16x16x32_fp8_fp8 v[8:11], a[114:115], a[74:75], v[8:11]// 000000004F4C: D3F30008 1C229572
	v_mfma_f32_16x16x32_fp8_fp8 v[8:11], a[116:117], a[76:77], v[8:11]// 000000004F54: D3F30008 1C229974
	v_mfma_f32_16x16x32_fp8_fp8 v[8:11], a[118:119], a[78:79], v[8:11]// 000000004F5C: D3F30008 1C229D76
	v_fma_f32 v216, v12, v6, v216                              // 000000004F64: D1CB00D8 07620D0C
	v_fma_f32 v217, v13, v6, v217                              // 000000004F6C: D1CB00D9 07660D0D
	v_fma_f32 v218, v14, v6, v218                              // 000000004F74: D1CB00DA 076A0D0E
	v_fma_f32 v219, v15, v6, v219                              // 000000004F7C: D1CB00DB 076E0D0F
	v_mfma_f32_16x16x32_fp8_fp8 v[12:15], a[120:121], a[72:73], 0// 000000004F84: D3F3000C 1A029178
	v_mfma_f32_16x16x32_fp8_fp8 v[12:15], a[122:123], a[74:75], v[12:15]// 000000004F8C: D3F3000C 1C32957A
	v_mfma_f32_16x16x32_fp8_fp8 v[12:15], a[124:125], a[76:77], v[12:15]// 000000004F94: D3F3000C 1C32997C
	v_mfma_f32_16x16x32_fp8_fp8 v[12:15], a[126:127], a[78:79], v[12:15]// 000000004F9C: D3F3000C 1C329D7E
	v_fma_f32 v160, v8, v4, v160                               // 000000004FA4: D1CB00A0 06820908
	v_fma_f32 v161, v9, v4, v161                               // 000000004FAC: D1CB00A1 06860909
	v_fma_f32 v162, v10, v4, v162                              // 000000004FB4: D1CB00A2 068A090A
	v_fma_f32 v163, v11, v4, v163                              // 000000004FBC: D1CB00A3 068E090B
	v_mul_f32_dpp v6, v27, v47 row_newbcast:1 row_mask:0xf bank_mask:0xf// 000000004FC4: 0A0C5EFA FF01511B
	v_mfma_f32_16x16x32_fp8_fp8 v[8:11], a[128:129], a[72:73], 0// 000000004FCC: D3F30008 1A029180
	v_mfma_f32_16x16x32_fp8_fp8 v[8:11], a[130:131], a[74:75], v[8:11]// 000000004FD4: D3F30008 1C229582
	v_mfma_f32_16x16x32_fp8_fp8 v[8:11], a[132:133], a[76:77], v[8:11]// 000000004FDC: D3F30008 1C229984
	s_add_u32 s60, 0x180, s80                                  // 000000004FE4: 803C50FF 00000180
	s_cmp_lt_u32 s60, s81                                      // 000000004FEC: BF0A513C
	s_cselect_b32 s57, s57, 0                                  // 000000004FF0: 85398039
	s_cselect_b32 s3, s3, 0                                    // 000000004FF4: 85038003
	v_mfma_f32_16x16x32_fp8_fp8 v[8:11], a[134:135], a[78:79], v[8:11]// 000000004FF8: D3F30008 1C229D86
	s_add_u32 s60, 0x100, s80                                  // 000000005000: 803C50FF 00000100
	s_cmp_lt_u32 s60, s81                                      // 000000005008: BF0A513C
	s_cselect_b32 s58, s58, 0                                  // 00000000500C: 853A803A
	v_fma_f32 v180, v12, v4, v180                              // 000000005010: D1CB00B4 06D2090C
	v_fma_f32 v181, v13, v4, v181                              // 000000005018: D1CB00B5 06D6090D
	v_fma_f32 v182, v14, v4, v182                              // 000000005020: D1CB00B6 06DA090E
	v_fma_f32 v183, v15, v4, v183                              // 000000005028: D1CB00B7 06DE090F
	v_mfma_f32_16x16x32_fp8_fp8 v[12:15], a[136:137], a[72:73], 0// 000000005030: D3F3000C 1A029188
	s_add_u32 s24, s58, s24                                    // 000000005038: 8018183A
	s_addc_u32 s25, 0, s25                                     // 00000000503C: 82191980
	v_mfma_f32_16x16x32_fp8_fp8 v[12:15], a[138:139], a[74:75], v[12:15]// 000000005040: D3F3000C 1C32958A
	s_add_u32 s20, s57, s20                                    // 000000005048: 80141439
	s_addc_u32 s21, 0, s21                                     // 00000000504C: 82151580
	s_add_u32 s28, s3, s28                                     // 000000005050: 801C1C03
	s_addc_u32 s29, 0, s29                                     // 000000005054: 821D1D80
	v_mfma_f32_16x16x32_fp8_fp8 v[12:15], a[140:141], a[76:77], v[12:15]// 000000005058: D3F3000C 1C32998C
	s_add_u32 s84, s83, s84                                    // 000000005060: 80545453
	s_addc_u32 s85, 0, s85                                     // 000000005064: 82555580
	v_mfma_f32_16x16x32_fp8_fp8 v[12:15], a[142:143], a[78:79], v[12:15]// 000000005068: D3F3000C 1C329D8E
	v_fma_f32 v200, v8, v6, v200                               // 000000005070: D1CB00C8 07220D08
	v_fma_f32 v201, v9, v6, v201                               // 000000005078: D1CB00C9 07260D09
	v_fma_f32 v202, v10, v6, v202                              // 000000005080: D1CB00CA 072A0D0A
	v_fma_f32 v203, v11, v6, v203                              // 000000005088: D1CB00CB 072E0D0B
	v_fma_f32 v220, v12, v6, v220                              // 000000005090: D1CB00DC 07720D0C
	v_fma_f32 v221, v13, v6, v221                              // 000000005098: D1CB00DD 07760D0D
	v_fma_f32 v222, v14, v6, v222                              // 0000000050A0: D1CB00DE 077A0D0E
	v_fma_f32 v223, v15, v6, v223                              // 0000000050A8: D1CB00DF 077E0D0F
	s_addk_i32 s80, 0x80                                       // 0000000050B0: B7500080
	s_cmp_lt_i32 s80, s81                                      // 0000000050B4: BF045150
	s_cbranch_scc0 label_09B0                                  // 0000000050B8: BF840001
	s_branch label_0319                                        // 0000000050BC: BF82F969

00000000000050c0 <label_09B0>:
	s_cmp_eq_u32 s88, 0                                        // 0000000050C0: BF068058
	s_cbranch_scc0 label_1547                                  // 0000000050C4: BF840B95
	s_cmp_eq_u32 s89, 0                                        // 0000000050C8: BF068059
	s_cbranch_scc1 label_0CD9                                  // 0000000050CC: BF850325
	v_mov_b32_e32 v8, v1                                       // 0000000050D0: 7E100301
	v_mov_b32_e32 v9, v1                                       // 0000000050D4: 7E120301
	s_mov_b32 s60, s6                                          // 0000000050D8: BEBC0006
	s_mov_b32 s61, s6                                          // 0000000050DC: BEBD0006
	v_pk_mul_f32 v[4:5], v[64:65], v[64:65]                    // 0000000050E0: D3B14004 18028140
	v_pk_mul_f32 v[6:7], v[66:67], v[66:67]                    // 0000000050E8: D3B14006 18028542
	v_pk_fma_f32 v[4:5], v[4:5], s[78:79], v[8:9]              // 0000000050F0: D3B04004 1C209D04
	v_pk_fma_f32 v[6:7], v[6:7], s[78:79], v[8:9]              // 0000000050F8: D3B04006 1C209D06
	v_pk_mul_f32 v[4:5], v[4:5], v[64:65]                      // 000000005100: D3B14004 18028104
	v_pk_mul_f32 v[6:7], v[6:7], v[66:67]                      // 000000005108: D3B14006 18028506
	v_pk_mul_f32 v[4:5], v[4:5], s[60:61]                      // 000000005110: D3B14004 18007904
	v_pk_mul_f32 v[6:7], v[6:7], s[60:61]                      // 000000005118: D3B14006 18007906
	v_exp_f32_e32 v4, v4                                       // 000000005120: 7E084104
	v_exp_f32_e32 v5, v5                                       // 000000005124: 7E0A4105
	v_exp_f32_e32 v6, v6                                       // 000000005128: 7E0C4106
	v_exp_f32_e32 v7, v7                                       // 00000000512C: 7E0E4107
	v_add_f32_e64 v4, v4, 1.0                                  // 000000005130: D1010004 0001E504
	v_add_f32_e64 v5, v5, 1.0                                  // 000000005138: D1010005 0001E505
	v_add_f32_e64 v6, v6, 1.0                                  // 000000005140: D1010006 0001E506
	v_add_f32_e64 v7, v7, 1.0                                  // 000000005148: D1010007 0001E507
	v_rcp_f32_e32 v4, v4                                       // 000000005150: 7E084504
	v_rcp_f32_e32 v5, v5                                       // 000000005154: 7E0A4505
	v_rcp_f32_e32 v6, v6                                       // 000000005158: 7E0C4506
	v_rcp_f32_e32 v7, v7                                       // 00000000515C: 7E0E4507
	v_mul_f32_e32 v64, v64, v4                                 // 000000005160: 0A800940
	v_mul_f32_e32 v65, v65, v5                                 // 000000005164: 0A820B41
	v_mul_f32_e32 v66, v66, v6                                 // 000000005168: 0A840D42
	v_mul_f32_e32 v67, v67, v7                                 // 00000000516C: 0A860F43
	v_mul_f32_e32 v64, v64, v144                               // 000000005170: 0A812140
	v_mul_f32_e32 v65, v65, v145                               // 000000005174: 0A832341
	v_mul_f32_e32 v66, v66, v146                               // 000000005178: 0A852542
	v_mul_f32_e32 v67, v67, v147                               // 00000000517C: 0A872743
	v_pk_mul_f32 v[4:5], v[68:69], v[68:69]                    // 000000005180: D3B14004 18028944
	v_pk_mul_f32 v[6:7], v[70:71], v[70:71]                    // 000000005188: D3B14006 18028D46
	v_pk_fma_f32 v[4:5], v[4:5], s[78:79], v[8:9]              // 000000005190: D3B04004 1C209D04
	v_pk_fma_f32 v[6:7], v[6:7], s[78:79], v[8:9]              // 000000005198: D3B04006 1C209D06
	v_pk_mul_f32 v[4:5], v[4:5], v[68:69]                      // 0000000051A0: D3B14004 18028904
	v_pk_mul_f32 v[6:7], v[6:7], v[70:71]                      // 0000000051A8: D3B14006 18028D06
	v_pk_mul_f32 v[4:5], v[4:5], s[60:61]                      // 0000000051B0: D3B14004 18007904
	v_pk_mul_f32 v[6:7], v[6:7], s[60:61]                      // 0000000051B8: D3B14006 18007906
	v_exp_f32_e32 v4, v4                                       // 0000000051C0: 7E084104
	v_exp_f32_e32 v5, v5                                       // 0000000051C4: 7E0A4105
	v_exp_f32_e32 v6, v6                                       // 0000000051C8: 7E0C4106
	v_exp_f32_e32 v7, v7                                       // 0000000051CC: 7E0E4107
	v_add_f32_e64 v4, v4, 1.0                                  // 0000000051D0: D1010004 0001E504
	v_add_f32_e64 v5, v5, 1.0                                  // 0000000051D8: D1010005 0001E505
	v_add_f32_e64 v6, v6, 1.0                                  // 0000000051E0: D1010006 0001E506
	v_add_f32_e64 v7, v7, 1.0                                  // 0000000051E8: D1010007 0001E507
	v_rcp_f32_e32 v4, v4                                       // 0000000051F0: 7E084504
	v_rcp_f32_e32 v5, v5                                       // 0000000051F4: 7E0A4505
	v_rcp_f32_e32 v6, v6                                       // 0000000051F8: 7E0C4506
	v_rcp_f32_e32 v7, v7                                       // 0000000051FC: 7E0E4507
	v_mul_f32_e32 v68, v68, v4                                 // 000000005200: 0A880944
	v_mul_f32_e32 v69, v69, v5                                 // 000000005204: 0A8A0B45
	v_mul_f32_e32 v70, v70, v6                                 // 000000005208: 0A8C0D46
	v_mul_f32_e32 v71, v71, v7                                 // 00000000520C: 0A8E0F47
	v_mul_f32_e32 v68, v68, v148                               // 000000005210: 0A892944
	v_mul_f32_e32 v69, v69, v149                               // 000000005214: 0A8B2B45
	v_mul_f32_e32 v70, v70, v150                               // 000000005218: 0A8D2D46
	v_mul_f32_e32 v71, v71, v151                               // 00000000521C: 0A8F2F47
	v_pk_mul_f32 v[4:5], v[72:73], v[72:73]                    // 000000005220: D3B14004 18029148
	v_pk_mul_f32 v[6:7], v[74:75], v[74:75]                    // 000000005228: D3B14006 1802954A
	v_pk_fma_f32 v[4:5], v[4:5], s[78:79], v[8:9]              // 000000005230: D3B04004 1C209D04
	v_pk_fma_f32 v[6:7], v[6:7], s[78:79], v[8:9]              // 000000005238: D3B04006 1C209D06
	v_pk_mul_f32 v[4:5], v[4:5], v[72:73]                      // 000000005240: D3B14004 18029104
	v_pk_mul_f32 v[6:7], v[6:7], v[74:75]                      // 000000005248: D3B14006 18029506
	v_pk_mul_f32 v[4:5], v[4:5], s[60:61]                      // 000000005250: D3B14004 18007904
	v_pk_mul_f32 v[6:7], v[6:7], s[60:61]                      // 000000005258: D3B14006 18007906
	v_exp_f32_e32 v4, v4                                       // 000000005260: 7E084104
	v_exp_f32_e32 v5, v5                                       // 000000005264: 7E0A4105
	v_exp_f32_e32 v6, v6                                       // 000000005268: 7E0C4106
	v_exp_f32_e32 v7, v7                                       // 00000000526C: 7E0E4107
	v_add_f32_e64 v4, v4, 1.0                                  // 000000005270: D1010004 0001E504
	v_add_f32_e64 v5, v5, 1.0                                  // 000000005278: D1010005 0001E505
	v_add_f32_e64 v6, v6, 1.0                                  // 000000005280: D1010006 0001E506
	v_add_f32_e64 v7, v7, 1.0                                  // 000000005288: D1010007 0001E507
	v_rcp_f32_e32 v4, v4                                       // 000000005290: 7E084504
	v_rcp_f32_e32 v5, v5                                       // 000000005294: 7E0A4505
	v_rcp_f32_e32 v6, v6                                       // 000000005298: 7E0C4506
	v_rcp_f32_e32 v7, v7                                       // 00000000529C: 7E0E4507
	v_mul_f32_e32 v72, v72, v4                                 // 0000000052A0: 0A900948
	v_mul_f32_e32 v73, v73, v5                                 // 0000000052A4: 0A920B49
	v_mul_f32_e32 v74, v74, v6                                 // 0000000052A8: 0A940D4A
	v_mul_f32_e32 v75, v75, v7                                 // 0000000052AC: 0A960F4B
	v_mul_f32_e32 v72, v72, v152                               // 0000000052B0: 0A913148
	v_mul_f32_e32 v73, v73, v153                               // 0000000052B4: 0A933349
	v_mul_f32_e32 v74, v74, v154                               // 0000000052B8: 0A95354A
	v_mul_f32_e32 v75, v75, v155                               // 0000000052BC: 0A97374B
	v_pk_mul_f32 v[4:5], v[76:77], v[76:77]                    // 0000000052C0: D3B14004 1802994C
	v_pk_mul_f32 v[6:7], v[78:79], v[78:79]                    // 0000000052C8: D3B14006 18029D4E
	v_pk_fma_f32 v[4:5], v[4:5], s[78:79], v[8:9]              // 0000000052D0: D3B04004 1C209D04
	v_pk_fma_f32 v[6:7], v[6:7], s[78:79], v[8:9]              // 0000000052D8: D3B04006 1C209D06
	v_pk_mul_f32 v[4:5], v[4:5], v[76:77]                      // 0000000052E0: D3B14004 18029904
	v_pk_mul_f32 v[6:7], v[6:7], v[78:79]                      // 0000000052E8: D3B14006 18029D06
	v_pk_mul_f32 v[4:5], v[4:5], s[60:61]                      // 0000000052F0: D3B14004 18007904
	v_pk_mul_f32 v[6:7], v[6:7], s[60:61]                      // 0000000052F8: D3B14006 18007906
	v_exp_f32_e32 v4, v4                                       // 000000005300: 7E084104
	v_exp_f32_e32 v5, v5                                       // 000000005304: 7E0A4105
	v_exp_f32_e32 v6, v6                                       // 000000005308: 7E0C4106
	v_exp_f32_e32 v7, v7                                       // 00000000530C: 7E0E4107
	v_add_f32_e64 v4, v4, 1.0                                  // 000000005310: D1010004 0001E504
	v_add_f32_e64 v5, v5, 1.0                                  // 000000005318: D1010005 0001E505
	v_add_f32_e64 v6, v6, 1.0                                  // 000000005320: D1010006 0001E506
	v_add_f32_e64 v7, v7, 1.0                                  // 000000005328: D1010007 0001E507
	v_rcp_f32_e32 v4, v4                                       // 000000005330: 7E084504
	v_rcp_f32_e32 v5, v5                                       // 000000005334: 7E0A4505
	v_rcp_f32_e32 v6, v6                                       // 000000005338: 7E0C4506
	v_rcp_f32_e32 v7, v7                                       // 00000000533C: 7E0E4507
	v_mul_f32_e32 v76, v76, v4                                 // 000000005340: 0A98094C
	v_mul_f32_e32 v77, v77, v5                                 // 000000005344: 0A9A0B4D
	v_mul_f32_e32 v78, v78, v6                                 // 000000005348: 0A9C0D4E
	v_mul_f32_e32 v79, v79, v7                                 // 00000000534C: 0A9E0F4F
	v_mul_f32_e32 v76, v76, v156                               // 000000005350: 0A99394C
	v_mul_f32_e32 v77, v77, v157                               // 000000005354: 0A9B3B4D
	v_mul_f32_e32 v78, v78, v158                               // 000000005358: 0A9D3D4E
	v_mul_f32_e32 v79, v79, v159                               // 00000000535C: 0A9F3F4F
	v_pk_mul_f32 v[4:5], v[80:81], v[80:81]                    // 000000005360: D3B14004 1802A150
	v_pk_mul_f32 v[6:7], v[82:83], v[82:83]                    // 000000005368: D3B14006 1802A552
	v_pk_fma_f32 v[4:5], v[4:5], s[78:79], v[8:9]              // 000000005370: D3B04004 1C209D04
	v_pk_fma_f32 v[6:7], v[6:7], s[78:79], v[8:9]              // 000000005378: D3B04006 1C209D06
	v_pk_mul_f32 v[4:5], v[4:5], v[80:81]                      // 000000005380: D3B14004 1802A104
	v_pk_mul_f32 v[6:7], v[6:7], v[82:83]                      // 000000005388: D3B14006 1802A506
	v_pk_mul_f32 v[4:5], v[4:5], s[60:61]                      // 000000005390: D3B14004 18007904
	v_pk_mul_f32 v[6:7], v[6:7], s[60:61]                      // 000000005398: D3B14006 18007906
	v_exp_f32_e32 v4, v4                                       // 0000000053A0: 7E084104
	v_exp_f32_e32 v5, v5                                       // 0000000053A4: 7E0A4105
	v_exp_f32_e32 v6, v6                                       // 0000000053A8: 7E0C4106
	v_exp_f32_e32 v7, v7                                       // 0000000053AC: 7E0E4107
	v_add_f32_e64 v4, v4, 1.0                                  // 0000000053B0: D1010004 0001E504
	v_add_f32_e64 v5, v5, 1.0                                  // 0000000053B8: D1010005 0001E505
	v_add_f32_e64 v6, v6, 1.0                                  // 0000000053C0: D1010006 0001E506
	v_add_f32_e64 v7, v7, 1.0                                  // 0000000053C8: D1010007 0001E507
	v_rcp_f32_e32 v4, v4                                       // 0000000053D0: 7E084504
	v_rcp_f32_e32 v5, v5                                       // 0000000053D4: 7E0A4505
	v_rcp_f32_e32 v6, v6                                       // 0000000053D8: 7E0C4506
	v_rcp_f32_e32 v7, v7                                       // 0000000053DC: 7E0E4507
	v_mul_f32_e32 v80, v80, v4                                 // 0000000053E0: 0AA00950
	v_mul_f32_e32 v81, v81, v5                                 // 0000000053E4: 0AA20B51
	v_mul_f32_e32 v82, v82, v6                                 // 0000000053E8: 0AA40D52
	v_mul_f32_e32 v83, v83, v7                                 // 0000000053EC: 0AA60F53
	v_mul_f32_e32 v80, v80, v160                               // 0000000053F0: 0AA14150
	v_mul_f32_e32 v81, v81, v161                               // 0000000053F4: 0AA34351
	v_mul_f32_e32 v82, v82, v162                               // 0000000053F8: 0AA54552
	v_mul_f32_e32 v83, v83, v163                               // 0000000053FC: 0AA74753
	v_pk_mul_f32 v[4:5], v[84:85], v[84:85]                    // 000000005400: D3B14004 1802A954
	v_pk_mul_f32 v[6:7], v[86:87], v[86:87]                    // 000000005408: D3B14006 1802AD56
	v_pk_fma_f32 v[4:5], v[4:5], s[78:79], v[8:9]              // 000000005410: D3B04004 1C209D04
	v_pk_fma_f32 v[6:7], v[6:7], s[78:79], v[8:9]              // 000000005418: D3B04006 1C209D06
	v_pk_mul_f32 v[4:5], v[4:5], v[84:85]                      // 000000005420: D3B14004 1802A904
	v_pk_mul_f32 v[6:7], v[6:7], v[86:87]                      // 000000005428: D3B14006 1802AD06
	v_pk_mul_f32 v[4:5], v[4:5], s[60:61]                      // 000000005430: D3B14004 18007904
	v_pk_mul_f32 v[6:7], v[6:7], s[60:61]                      // 000000005438: D3B14006 18007906
	v_exp_f32_e32 v4, v4                                       // 000000005440: 7E084104
	v_exp_f32_e32 v5, v5                                       // 000000005444: 7E0A4105
	v_exp_f32_e32 v6, v6                                       // 000000005448: 7E0C4106
	v_exp_f32_e32 v7, v7                                       // 00000000544C: 7E0E4107
	v_add_f32_e64 v4, v4, 1.0                                  // 000000005450: D1010004 0001E504
	v_add_f32_e64 v5, v5, 1.0                                  // 000000005458: D1010005 0001E505
	v_add_f32_e64 v6, v6, 1.0                                  // 000000005460: D1010006 0001E506
	v_add_f32_e64 v7, v7, 1.0                                  // 000000005468: D1010007 0001E507
	v_rcp_f32_e32 v4, v4                                       // 000000005470: 7E084504
	v_rcp_f32_e32 v5, v5                                       // 000000005474: 7E0A4505
	v_rcp_f32_e32 v6, v6                                       // 000000005478: 7E0C4506
	v_rcp_f32_e32 v7, v7                                       // 00000000547C: 7E0E4507
	v_mul_f32_e32 v84, v84, v4                                 // 000000005480: 0AA80954
	v_mul_f32_e32 v85, v85, v5                                 // 000000005484: 0AAA0B55
	v_mul_f32_e32 v86, v86, v6                                 // 000000005488: 0AAC0D56
	v_mul_f32_e32 v87, v87, v7                                 // 00000000548C: 0AAE0F57
	v_mul_f32_e32 v84, v84, v164                               // 000000005490: 0AA94954
	v_mul_f32_e32 v85, v85, v165                               // 000000005494: 0AAB4B55
	v_mul_f32_e32 v86, v86, v166                               // 000000005498: 0AAD4D56
	v_mul_f32_e32 v87, v87, v167                               // 00000000549C: 0AAF4F57
	v_pk_mul_f32 v[4:5], v[88:89], v[88:89]                    // 0000000054A0: D3B14004 1802B158
	v_pk_mul_f32 v[6:7], v[90:91], v[90:91]                    // 0000000054A8: D3B14006 1802B55A
	v_pk_fma_f32 v[4:5], v[4:5], s[78:79], v[8:9]              // 0000000054B0: D3B04004 1C209D04
	v_pk_fma_f32 v[6:7], v[6:7], s[78:79], v[8:9]              // 0000000054B8: D3B04006 1C209D06
	v_pk_mul_f32 v[4:5], v[4:5], v[88:89]                      // 0000000054C0: D3B14004 1802B104
	v_pk_mul_f32 v[6:7], v[6:7], v[90:91]                      // 0000000054C8: D3B14006 1802B506
	v_pk_mul_f32 v[4:5], v[4:5], s[60:61]                      // 0000000054D0: D3B14004 18007904
	v_pk_mul_f32 v[6:7], v[6:7], s[60:61]                      // 0000000054D8: D3B14006 18007906
	v_exp_f32_e32 v4, v4                                       // 0000000054E0: 7E084104
	v_exp_f32_e32 v5, v5                                       // 0000000054E4: 7E0A4105
	v_exp_f32_e32 v6, v6                                       // 0000000054E8: 7E0C4106
	v_exp_f32_e32 v7, v7                                       // 0000000054EC: 7E0E4107
	v_add_f32_e64 v4, v4, 1.0                                  // 0000000054F0: D1010004 0001E504
	v_add_f32_e64 v5, v5, 1.0                                  // 0000000054F8: D1010005 0001E505
	v_add_f32_e64 v6, v6, 1.0                                  // 000000005500: D1010006 0001E506
	v_add_f32_e64 v7, v7, 1.0                                  // 000000005508: D1010007 0001E507
	v_rcp_f32_e32 v4, v4                                       // 000000005510: 7E084504
	v_rcp_f32_e32 v5, v5                                       // 000000005514: 7E0A4505
	v_rcp_f32_e32 v6, v6                                       // 000000005518: 7E0C4506
	v_rcp_f32_e32 v7, v7                                       // 00000000551C: 7E0E4507
	v_mul_f32_e32 v88, v88, v4                                 // 000000005520: 0AB00958
	v_mul_f32_e32 v89, v89, v5                                 // 000000005524: 0AB20B59
	v_mul_f32_e32 v90, v90, v6                                 // 000000005528: 0AB40D5A
	v_mul_f32_e32 v91, v91, v7                                 // 00000000552C: 0AB60F5B
	v_mul_f32_e32 v88, v88, v168                               // 000000005530: 0AB15158
	v_mul_f32_e32 v89, v89, v169                               // 000000005534: 0AB35359
	v_mul_f32_e32 v90, v90, v170                               // 000000005538: 0AB5555A
	v_mul_f32_e32 v91, v91, v171                               // 00000000553C: 0AB7575B
	v_pk_mul_f32 v[4:5], v[92:93], v[92:93]                    // 000000005540: D3B14004 1802B95C
	v_pk_mul_f32 v[6:7], v[94:95], v[94:95]                    // 000000005548: D3B14006 1802BD5E
	v_pk_fma_f32 v[4:5], v[4:5], s[78:79], v[8:9]              // 000000005550: D3B04004 1C209D04
	v_pk_fma_f32 v[6:7], v[6:7], s[78:79], v[8:9]              // 000000005558: D3B04006 1C209D06
	v_pk_mul_f32 v[4:5], v[4:5], v[92:93]                      // 000000005560: D3B14004 1802B904
	v_pk_mul_f32 v[6:7], v[6:7], v[94:95]                      // 000000005568: D3B14006 1802BD06
	v_pk_mul_f32 v[4:5], v[4:5], s[60:61]                      // 000000005570: D3B14004 18007904
	v_pk_mul_f32 v[6:7], v[6:7], s[60:61]                      // 000000005578: D3B14006 18007906
	v_exp_f32_e32 v4, v4                                       // 000000005580: 7E084104
	v_exp_f32_e32 v5, v5                                       // 000000005584: 7E0A4105
	v_exp_f32_e32 v6, v6                                       // 000000005588: 7E0C4106
	v_exp_f32_e32 v7, v7                                       // 00000000558C: 7E0E4107
	v_add_f32_e64 v4, v4, 1.0                                  // 000000005590: D1010004 0001E504
	v_add_f32_e64 v5, v5, 1.0                                  // 000000005598: D1010005 0001E505
	v_add_f32_e64 v6, v6, 1.0                                  // 0000000055A0: D1010006 0001E506
	v_add_f32_e64 v7, v7, 1.0                                  // 0000000055A8: D1010007 0001E507
	v_rcp_f32_e32 v4, v4                                       // 0000000055B0: 7E084504
	v_rcp_f32_e32 v5, v5                                       // 0000000055B4: 7E0A4505
	v_rcp_f32_e32 v6, v6                                       // 0000000055B8: 7E0C4506
	v_rcp_f32_e32 v7, v7                                       // 0000000055BC: 7E0E4507
	v_mul_f32_e32 v92, v92, v4                                 // 0000000055C0: 0AB8095C
	v_mul_f32_e32 v93, v93, v5                                 // 0000000055C4: 0ABA0B5D
	v_mul_f32_e32 v94, v94, v6                                 // 0000000055C8: 0ABC0D5E
	v_mul_f32_e32 v95, v95, v7                                 // 0000000055CC: 0ABE0F5F
	v_mul_f32_e32 v92, v92, v172                               // 0000000055D0: 0AB9595C
	v_mul_f32_e32 v93, v93, v173                               // 0000000055D4: 0ABB5B5D
	v_mul_f32_e32 v94, v94, v174                               // 0000000055D8: 0ABD5D5E
	v_mul_f32_e32 v95, v95, v175                               // 0000000055DC: 0ABF5F5F
	v_pk_mul_f32 v[4:5], v[96:97], v[96:97]                    // 0000000055E0: D3B14004 1802C160
	v_pk_mul_f32 v[6:7], v[98:99], v[98:99]                    // 0000000055E8: D3B14006 1802C562
	v_pk_fma_f32 v[4:5], v[4:5], s[78:79], v[8:9]              // 0000000055F0: D3B04004 1C209D04
	v_pk_fma_f32 v[6:7], v[6:7], s[78:79], v[8:9]              // 0000000055F8: D3B04006 1C209D06
	v_pk_mul_f32 v[4:5], v[4:5], v[96:97]                      // 000000005600: D3B14004 1802C104
	v_pk_mul_f32 v[6:7], v[6:7], v[98:99]                      // 000000005608: D3B14006 1802C506
	v_pk_mul_f32 v[4:5], v[4:5], s[60:61]                      // 000000005610: D3B14004 18007904
	v_pk_mul_f32 v[6:7], v[6:7], s[60:61]                      // 000000005618: D3B14006 18007906
	v_exp_f32_e32 v4, v4                                       // 000000005620: 7E084104
	v_exp_f32_e32 v5, v5                                       // 000000005624: 7E0A4105
	v_exp_f32_e32 v6, v6                                       // 000000005628: 7E0C4106
	v_exp_f32_e32 v7, v7                                       // 00000000562C: 7E0E4107
	v_add_f32_e64 v4, v4, 1.0                                  // 000000005630: D1010004 0001E504
	v_add_f32_e64 v5, v5, 1.0                                  // 000000005638: D1010005 0001E505
	v_add_f32_e64 v6, v6, 1.0                                  // 000000005640: D1010006 0001E506
	v_add_f32_e64 v7, v7, 1.0                                  // 000000005648: D1010007 0001E507
	v_rcp_f32_e32 v4, v4                                       // 000000005650: 7E084504
	v_rcp_f32_e32 v5, v5                                       // 000000005654: 7E0A4505
	v_rcp_f32_e32 v6, v6                                       // 000000005658: 7E0C4506
	v_rcp_f32_e32 v7, v7                                       // 00000000565C: 7E0E4507
	v_mul_f32_e32 v96, v96, v4                                 // 000000005660: 0AC00960
	v_mul_f32_e32 v97, v97, v5                                 // 000000005664: 0AC20B61
	v_mul_f32_e32 v98, v98, v6                                 // 000000005668: 0AC40D62
	v_mul_f32_e32 v99, v99, v7                                 // 00000000566C: 0AC60F63
	v_mul_f32_e32 v96, v96, v176                               // 000000005670: 0AC16160
	v_mul_f32_e32 v97, v97, v177                               // 000000005674: 0AC36361
	v_mul_f32_e32 v98, v98, v178                               // 000000005678: 0AC56562
	v_mul_f32_e32 v99, v99, v179                               // 00000000567C: 0AC76763
	v_pk_mul_f32 v[4:5], v[100:101], v[100:101]                // 000000005680: D3B14004 1802C964
	v_pk_mul_f32 v[6:7], v[102:103], v[102:103]                // 000000005688: D3B14006 1802CD66
	v_pk_fma_f32 v[4:5], v[4:5], s[78:79], v[8:9]              // 000000005690: D3B04004 1C209D04
	v_pk_fma_f32 v[6:7], v[6:7], s[78:79], v[8:9]              // 000000005698: D3B04006 1C209D06
	v_pk_mul_f32 v[4:5], v[4:5], v[100:101]                    // 0000000056A0: D3B14004 1802C904
	v_pk_mul_f32 v[6:7], v[6:7], v[102:103]                    // 0000000056A8: D3B14006 1802CD06
	v_pk_mul_f32 v[4:5], v[4:5], s[60:61]                      // 0000000056B0: D3B14004 18007904
	v_pk_mul_f32 v[6:7], v[6:7], s[60:61]                      // 0000000056B8: D3B14006 18007906
	v_exp_f32_e32 v4, v4                                       // 0000000056C0: 7E084104
	v_exp_f32_e32 v5, v5                                       // 0000000056C4: 7E0A4105
	v_exp_f32_e32 v6, v6                                       // 0000000056C8: 7E0C4106
	v_exp_f32_e32 v7, v7                                       // 0000000056CC: 7E0E4107
	v_add_f32_e64 v4, v4, 1.0                                  // 0000000056D0: D1010004 0001E504
	v_add_f32_e64 v5, v5, 1.0                                  // 0000000056D8: D1010005 0001E505
	v_add_f32_e64 v6, v6, 1.0                                  // 0000000056E0: D1010006 0001E506
	v_add_f32_e64 v7, v7, 1.0                                  // 0000000056E8: D1010007 0001E507
	v_rcp_f32_e32 v4, v4                                       // 0000000056F0: 7E084504
	v_rcp_f32_e32 v5, v5                                       // 0000000056F4: 7E0A4505
	v_rcp_f32_e32 v6, v6                                       // 0000000056F8: 7E0C4506
	v_rcp_f32_e32 v7, v7                                       // 0000000056FC: 7E0E4507
	v_mul_f32_e32 v100, v100, v4                               // 000000005700: 0AC80964
	v_mul_f32_e32 v101, v101, v5                               // 000000005704: 0ACA0B65
	v_mul_f32_e32 v102, v102, v6                               // 000000005708: 0ACC0D66
	v_mul_f32_e32 v103, v103, v7                               // 00000000570C: 0ACE0F67
	v_mul_f32_e32 v100, v100, v180                             // 000000005710: 0AC96964
	v_mul_f32_e32 v101, v101, v181                             // 000000005714: 0ACB6B65
	v_mul_f32_e32 v102, v102, v182                             // 000000005718: 0ACD6D66
	v_mul_f32_e32 v103, v103, v183                             // 00000000571C: 0ACF6F67
	v_pk_mul_f32 v[4:5], v[104:105], v[104:105]                // 000000005720: D3B14004 1802D168
	v_pk_mul_f32 v[6:7], v[106:107], v[106:107]                // 000000005728: D3B14006 1802D56A
	v_pk_fma_f32 v[4:5], v[4:5], s[78:79], v[8:9]              // 000000005730: D3B04004 1C209D04
	v_pk_fma_f32 v[6:7], v[6:7], s[78:79], v[8:9]              // 000000005738: D3B04006 1C209D06
	v_pk_mul_f32 v[4:5], v[4:5], v[104:105]                    // 000000005740: D3B14004 1802D104
	v_pk_mul_f32 v[6:7], v[6:7], v[106:107]                    // 000000005748: D3B14006 1802D506
	v_pk_mul_f32 v[4:5], v[4:5], s[60:61]                      // 000000005750: D3B14004 18007904
	v_pk_mul_f32 v[6:7], v[6:7], s[60:61]                      // 000000005758: D3B14006 18007906
	v_exp_f32_e32 v4, v4                                       // 000000005760: 7E084104
	v_exp_f32_e32 v5, v5                                       // 000000005764: 7E0A4105
	v_exp_f32_e32 v6, v6                                       // 000000005768: 7E0C4106
	v_exp_f32_e32 v7, v7                                       // 00000000576C: 7E0E4107
	v_add_f32_e64 v4, v4, 1.0                                  // 000000005770: D1010004 0001E504
	v_add_f32_e64 v5, v5, 1.0                                  // 000000005778: D1010005 0001E505
	v_add_f32_e64 v6, v6, 1.0                                  // 000000005780: D1010006 0001E506
	v_add_f32_e64 v7, v7, 1.0                                  // 000000005788: D1010007 0001E507
	v_rcp_f32_e32 v4, v4                                       // 000000005790: 7E084504
	v_rcp_f32_e32 v5, v5                                       // 000000005794: 7E0A4505
	v_rcp_f32_e32 v6, v6                                       // 000000005798: 7E0C4506
	v_rcp_f32_e32 v7, v7                                       // 00000000579C: 7E0E4507
	v_mul_f32_e32 v104, v104, v4                               // 0000000057A0: 0AD00968
	v_mul_f32_e32 v105, v105, v5                               // 0000000057A4: 0AD20B69
	v_mul_f32_e32 v106, v106, v6                               // 0000000057A8: 0AD40D6A
	v_mul_f32_e32 v107, v107, v7                               // 0000000057AC: 0AD60F6B
	v_mul_f32_e32 v104, v104, v184                             // 0000000057B0: 0AD17168
	v_mul_f32_e32 v105, v105, v185                             // 0000000057B4: 0AD37369
	v_mul_f32_e32 v106, v106, v186                             // 0000000057B8: 0AD5756A
	v_mul_f32_e32 v107, v107, v187                             // 0000000057BC: 0AD7776B
	v_pk_mul_f32 v[4:5], v[108:109], v[108:109]                // 0000000057C0: D3B14004 1802D96C
	v_pk_mul_f32 v[6:7], v[110:111], v[110:111]                // 0000000057C8: D3B14006 1802DD6E
	v_pk_fma_f32 v[4:5], v[4:5], s[78:79], v[8:9]              // 0000000057D0: D3B04004 1C209D04
	v_pk_fma_f32 v[6:7], v[6:7], s[78:79], v[8:9]              // 0000000057D8: D3B04006 1C209D06
	v_pk_mul_f32 v[4:5], v[4:5], v[108:109]                    // 0000000057E0: D3B14004 1802D904
	v_pk_mul_f32 v[6:7], v[6:7], v[110:111]                    // 0000000057E8: D3B14006 1802DD06
	v_pk_mul_f32 v[4:5], v[4:5], s[60:61]                      // 0000000057F0: D3B14004 18007904
	v_pk_mul_f32 v[6:7], v[6:7], s[60:61]                      // 0000000057F8: D3B14006 18007906
	v_exp_f32_e32 v4, v4                                       // 000000005800: 7E084104
	v_exp_f32_e32 v5, v5                                       // 000000005804: 7E0A4105
	v_exp_f32_e32 v6, v6                                       // 000000005808: 7E0C4106
	v_exp_f32_e32 v7, v7                                       // 00000000580C: 7E0E4107
	v_add_f32_e64 v4, v4, 1.0                                  // 000000005810: D1010004 0001E504
	v_add_f32_e64 v5, v5, 1.0                                  // 000000005818: D1010005 0001E505
	v_add_f32_e64 v6, v6, 1.0                                  // 000000005820: D1010006 0001E506
	v_add_f32_e64 v7, v7, 1.0                                  // 000000005828: D1010007 0001E507
	v_rcp_f32_e32 v4, v4                                       // 000000005830: 7E084504
	v_rcp_f32_e32 v5, v5                                       // 000000005834: 7E0A4505
	v_rcp_f32_e32 v6, v6                                       // 000000005838: 7E0C4506
	v_rcp_f32_e32 v7, v7                                       // 00000000583C: 7E0E4507
	v_mul_f32_e32 v108, v108, v4                               // 000000005840: 0AD8096C
	v_mul_f32_e32 v109, v109, v5                               // 000000005844: 0ADA0B6D
	v_mul_f32_e32 v110, v110, v6                               // 000000005848: 0ADC0D6E
	v_mul_f32_e32 v111, v111, v7                               // 00000000584C: 0ADE0F6F
	v_mul_f32_e32 v108, v108, v188                             // 000000005850: 0AD9796C
	v_mul_f32_e32 v109, v109, v189                             // 000000005854: 0ADB7B6D
	v_mul_f32_e32 v110, v110, v190                             // 000000005858: 0ADD7D6E
	v_mul_f32_e32 v111, v111, v191                             // 00000000585C: 0ADF7F6F
	v_pk_mul_f32 v[4:5], v[112:113], v[112:113]                // 000000005860: D3B14004 1802E170
	v_pk_mul_f32 v[6:7], v[114:115], v[114:115]                // 000000005868: D3B14006 1802E572
	v_pk_fma_f32 v[4:5], v[4:5], s[78:79], v[8:9]              // 000000005870: D3B04004 1C209D04
	v_pk_fma_f32 v[6:7], v[6:7], s[78:79], v[8:9]              // 000000005878: D3B04006 1C209D06
	v_pk_mul_f32 v[4:5], v[4:5], v[112:113]                    // 000000005880: D3B14004 1802E104
	v_pk_mul_f32 v[6:7], v[6:7], v[114:115]                    // 000000005888: D3B14006 1802E506
	v_pk_mul_f32 v[4:5], v[4:5], s[60:61]                      // 000000005890: D3B14004 18007904
	v_pk_mul_f32 v[6:7], v[6:7], s[60:61]                      // 000000005898: D3B14006 18007906
	v_exp_f32_e32 v4, v4                                       // 0000000058A0: 7E084104
	v_exp_f32_e32 v5, v5                                       // 0000000058A4: 7E0A4105
	v_exp_f32_e32 v6, v6                                       // 0000000058A8: 7E0C4106
	v_exp_f32_e32 v7, v7                                       // 0000000058AC: 7E0E4107
	v_add_f32_e64 v4, v4, 1.0                                  // 0000000058B0: D1010004 0001E504
	v_add_f32_e64 v5, v5, 1.0                                  // 0000000058B8: D1010005 0001E505
	v_add_f32_e64 v6, v6, 1.0                                  // 0000000058C0: D1010006 0001E506
	v_add_f32_e64 v7, v7, 1.0                                  // 0000000058C8: D1010007 0001E507
	v_rcp_f32_e32 v4, v4                                       // 0000000058D0: 7E084504
	v_rcp_f32_e32 v5, v5                                       // 0000000058D4: 7E0A4505
	v_rcp_f32_e32 v6, v6                                       // 0000000058D8: 7E0C4506
	v_rcp_f32_e32 v7, v7                                       // 0000000058DC: 7E0E4507
	v_mul_f32_e32 v112, v112, v4                               // 0000000058E0: 0AE00970
	v_mul_f32_e32 v113, v113, v5                               // 0000000058E4: 0AE20B71
	v_mul_f32_e32 v114, v114, v6                               // 0000000058E8: 0AE40D72
	v_mul_f32_e32 v115, v115, v7                               // 0000000058EC: 0AE60F73
	v_mul_f32_e32 v112, v112, v192                             // 0000000058F0: 0AE18170
	v_mul_f32_e32 v113, v113, v193                             // 0000000058F4: 0AE38371
	v_mul_f32_e32 v114, v114, v194                             // 0000000058F8: 0AE58572
	v_mul_f32_e32 v115, v115, v195                             // 0000000058FC: 0AE78773
	v_pk_mul_f32 v[4:5], v[116:117], v[116:117]                // 000000005900: D3B14004 1802E974
	v_pk_mul_f32 v[6:7], v[118:119], v[118:119]                // 000000005908: D3B14006 1802ED76
	v_pk_fma_f32 v[4:5], v[4:5], s[78:79], v[8:9]              // 000000005910: D3B04004 1C209D04
	v_pk_fma_f32 v[6:7], v[6:7], s[78:79], v[8:9]              // 000000005918: D3B04006 1C209D06
	v_pk_mul_f32 v[4:5], v[4:5], v[116:117]                    // 000000005920: D3B14004 1802E904
	v_pk_mul_f32 v[6:7], v[6:7], v[118:119]                    // 000000005928: D3B14006 1802ED06
	v_pk_mul_f32 v[4:5], v[4:5], s[60:61]                      // 000000005930: D3B14004 18007904
	v_pk_mul_f32 v[6:7], v[6:7], s[60:61]                      // 000000005938: D3B14006 18007906
	v_exp_f32_e32 v4, v4                                       // 000000005940: 7E084104
	v_exp_f32_e32 v5, v5                                       // 000000005944: 7E0A4105
	v_exp_f32_e32 v6, v6                                       // 000000005948: 7E0C4106
	v_exp_f32_e32 v7, v7                                       // 00000000594C: 7E0E4107
	v_add_f32_e64 v4, v4, 1.0                                  // 000000005950: D1010004 0001E504
	v_add_f32_e64 v5, v5, 1.0                                  // 000000005958: D1010005 0001E505
	v_add_f32_e64 v6, v6, 1.0                                  // 000000005960: D1010006 0001E506
	v_add_f32_e64 v7, v7, 1.0                                  // 000000005968: D1010007 0001E507
	v_rcp_f32_e32 v4, v4                                       // 000000005970: 7E084504
	v_rcp_f32_e32 v5, v5                                       // 000000005974: 7E0A4505
	v_rcp_f32_e32 v6, v6                                       // 000000005978: 7E0C4506
	v_rcp_f32_e32 v7, v7                                       // 00000000597C: 7E0E4507
	v_mul_f32_e32 v116, v116, v4                               // 000000005980: 0AE80974
	v_mul_f32_e32 v117, v117, v5                               // 000000005984: 0AEA0B75
	v_mul_f32_e32 v118, v118, v6                               // 000000005988: 0AEC0D76
	v_mul_f32_e32 v119, v119, v7                               // 00000000598C: 0AEE0F77
	v_mul_f32_e32 v116, v116, v196                             // 000000005990: 0AE98974
	v_mul_f32_e32 v117, v117, v197                             // 000000005994: 0AEB8B75
	v_mul_f32_e32 v118, v118, v198                             // 000000005998: 0AED8D76
	v_mul_f32_e32 v119, v119, v199                             // 00000000599C: 0AEF8F77
	v_pk_mul_f32 v[4:5], v[120:121], v[120:121]                // 0000000059A0: D3B14004 1802F178
	v_pk_mul_f32 v[6:7], v[122:123], v[122:123]                // 0000000059A8: D3B14006 1802F57A
	v_pk_fma_f32 v[4:5], v[4:5], s[78:79], v[8:9]              // 0000000059B0: D3B04004 1C209D04
	v_pk_fma_f32 v[6:7], v[6:7], s[78:79], v[8:9]              // 0000000059B8: D3B04006 1C209D06
	v_pk_mul_f32 v[4:5], v[4:5], v[120:121]                    // 0000000059C0: D3B14004 1802F104
	v_pk_mul_f32 v[6:7], v[6:7], v[122:123]                    // 0000000059C8: D3B14006 1802F506
	v_pk_mul_f32 v[4:5], v[4:5], s[60:61]                      // 0000000059D0: D3B14004 18007904
	v_pk_mul_f32 v[6:7], v[6:7], s[60:61]                      // 0000000059D8: D3B14006 18007906
	v_exp_f32_e32 v4, v4                                       // 0000000059E0: 7E084104
	v_exp_f32_e32 v5, v5                                       // 0000000059E4: 7E0A4105
	v_exp_f32_e32 v6, v6                                       // 0000000059E8: 7E0C4106
	v_exp_f32_e32 v7, v7                                       // 0000000059EC: 7E0E4107
	v_add_f32_e64 v4, v4, 1.0                                  // 0000000059F0: D1010004 0001E504
	v_add_f32_e64 v5, v5, 1.0                                  // 0000000059F8: D1010005 0001E505
	v_add_f32_e64 v6, v6, 1.0                                  // 000000005A00: D1010006 0001E506
	v_add_f32_e64 v7, v7, 1.0                                  // 000000005A08: D1010007 0001E507
	v_rcp_f32_e32 v4, v4                                       // 000000005A10: 7E084504
	v_rcp_f32_e32 v5, v5                                       // 000000005A14: 7E0A4505
	v_rcp_f32_e32 v6, v6                                       // 000000005A18: 7E0C4506
	v_rcp_f32_e32 v7, v7                                       // 000000005A1C: 7E0E4507
	v_mul_f32_e32 v120, v120, v4                               // 000000005A20: 0AF00978
	v_mul_f32_e32 v121, v121, v5                               // 000000005A24: 0AF20B79
	v_mul_f32_e32 v122, v122, v6                               // 000000005A28: 0AF40D7A
	v_mul_f32_e32 v123, v123, v7                               // 000000005A2C: 0AF60F7B
	v_mul_f32_e32 v120, v120, v200                             // 000000005A30: 0AF19178
	v_mul_f32_e32 v121, v121, v201                             // 000000005A34: 0AF39379
	v_mul_f32_e32 v122, v122, v202                             // 000000005A38: 0AF5957A
	v_mul_f32_e32 v123, v123, v203                             // 000000005A3C: 0AF7977B
	v_pk_mul_f32 v[4:5], v[124:125], v[124:125]                // 000000005A40: D3B14004 1802F97C
	v_pk_mul_f32 v[6:7], v[126:127], v[126:127]                // 000000005A48: D3B14006 1802FD7E
	v_pk_fma_f32 v[4:5], v[4:5], s[78:79], v[8:9]              // 000000005A50: D3B04004 1C209D04
	v_pk_fma_f32 v[6:7], v[6:7], s[78:79], v[8:9]              // 000000005A58: D3B04006 1C209D06
	v_pk_mul_f32 v[4:5], v[4:5], v[124:125]                    // 000000005A60: D3B14004 1802F904
	v_pk_mul_f32 v[6:7], v[6:7], v[126:127]                    // 000000005A68: D3B14006 1802FD06
	v_pk_mul_f32 v[4:5], v[4:5], s[60:61]                      // 000000005A70: D3B14004 18007904
	v_pk_mul_f32 v[6:7], v[6:7], s[60:61]                      // 000000005A78: D3B14006 18007906
	v_exp_f32_e32 v4, v4                                       // 000000005A80: 7E084104
	v_exp_f32_e32 v5, v5                                       // 000000005A84: 7E0A4105
	v_exp_f32_e32 v6, v6                                       // 000000005A88: 7E0C4106
	v_exp_f32_e32 v7, v7                                       // 000000005A8C: 7E0E4107
	v_add_f32_e64 v4, v4, 1.0                                  // 000000005A90: D1010004 0001E504
	v_add_f32_e64 v5, v5, 1.0                                  // 000000005A98: D1010005 0001E505
	v_add_f32_e64 v6, v6, 1.0                                  // 000000005AA0: D1010006 0001E506
	v_add_f32_e64 v7, v7, 1.0                                  // 000000005AA8: D1010007 0001E507
	v_rcp_f32_e32 v4, v4                                       // 000000005AB0: 7E084504
	v_rcp_f32_e32 v5, v5                                       // 000000005AB4: 7E0A4505
	v_rcp_f32_e32 v6, v6                                       // 000000005AB8: 7E0C4506
	v_rcp_f32_e32 v7, v7                                       // 000000005ABC: 7E0E4507
	v_mul_f32_e32 v124, v124, v4                               // 000000005AC0: 0AF8097C
	v_mul_f32_e32 v125, v125, v5                               // 000000005AC4: 0AFA0B7D
	v_mul_f32_e32 v126, v126, v6                               // 000000005AC8: 0AFC0D7E
	v_mul_f32_e32 v127, v127, v7                               // 000000005ACC: 0AFE0F7F
	v_mul_f32_e32 v124, v124, v204                             // 000000005AD0: 0AF9997C
	v_mul_f32_e32 v125, v125, v205                             // 000000005AD4: 0AFB9B7D
	v_mul_f32_e32 v126, v126, v206                             // 000000005AD8: 0AFD9D7E
	v_mul_f32_e32 v127, v127, v207                             // 000000005ADC: 0AFF9F7F
	v_pk_mul_f32 v[4:5], v[128:129], v[128:129]                // 000000005AE0: D3B14004 18030180
	v_pk_mul_f32 v[6:7], v[130:131], v[130:131]                // 000000005AE8: D3B14006 18030582
	v_pk_fma_f32 v[4:5], v[4:5], s[78:79], v[8:9]              // 000000005AF0: D3B04004 1C209D04
	v_pk_fma_f32 v[6:7], v[6:7], s[78:79], v[8:9]              // 000000005AF8: D3B04006 1C209D06
	v_pk_mul_f32 v[4:5], v[4:5], v[128:129]                    // 000000005B00: D3B14004 18030104
	v_pk_mul_f32 v[6:7], v[6:7], v[130:131]                    // 000000005B08: D3B14006 18030506
	v_pk_mul_f32 v[4:5], v[4:5], s[60:61]                      // 000000005B10: D3B14004 18007904
	v_pk_mul_f32 v[6:7], v[6:7], s[60:61]                      // 000000005B18: D3B14006 18007906
	v_exp_f32_e32 v4, v4                                       // 000000005B20: 7E084104
	v_exp_f32_e32 v5, v5                                       // 000000005B24: 7E0A4105
	v_exp_f32_e32 v6, v6                                       // 000000005B28: 7E0C4106
	v_exp_f32_e32 v7, v7                                       // 000000005B2C: 7E0E4107
	v_add_f32_e64 v4, v4, 1.0                                  // 000000005B30: D1010004 0001E504
	v_add_f32_e64 v5, v5, 1.0                                  // 000000005B38: D1010005 0001E505
	v_add_f32_e64 v6, v6, 1.0                                  // 000000005B40: D1010006 0001E506
	v_add_f32_e64 v7, v7, 1.0                                  // 000000005B48: D1010007 0001E507
	v_rcp_f32_e32 v4, v4                                       // 000000005B50: 7E084504
	v_rcp_f32_e32 v5, v5                                       // 000000005B54: 7E0A4505
	v_rcp_f32_e32 v6, v6                                       // 000000005B58: 7E0C4506
	v_rcp_f32_e32 v7, v7                                       // 000000005B5C: 7E0E4507
	v_mul_f32_e32 v128, v128, v4                               // 000000005B60: 0B000980
	v_mul_f32_e32 v129, v129, v5                               // 000000005B64: 0B020B81
	v_mul_f32_e32 v130, v130, v6                               // 000000005B68: 0B040D82
	v_mul_f32_e32 v131, v131, v7                               // 000000005B6C: 0B060F83
	v_mul_f32_e32 v128, v128, v208                             // 000000005B70: 0B01A180
	v_mul_f32_e32 v129, v129, v209                             // 000000005B74: 0B03A381
	v_mul_f32_e32 v130, v130, v210                             // 000000005B78: 0B05A582
	v_mul_f32_e32 v131, v131, v211                             // 000000005B7C: 0B07A783
	v_pk_mul_f32 v[4:5], v[132:133], v[132:133]                // 000000005B80: D3B14004 18030984
	v_pk_mul_f32 v[6:7], v[134:135], v[134:135]                // 000000005B88: D3B14006 18030D86
	v_pk_fma_f32 v[4:5], v[4:5], s[78:79], v[8:9]              // 000000005B90: D3B04004 1C209D04
	v_pk_fma_f32 v[6:7], v[6:7], s[78:79], v[8:9]              // 000000005B98: D3B04006 1C209D06
	v_pk_mul_f32 v[4:5], v[4:5], v[132:133]                    // 000000005BA0: D3B14004 18030904
	v_pk_mul_f32 v[6:7], v[6:7], v[134:135]                    // 000000005BA8: D3B14006 18030D06
	v_pk_mul_f32 v[4:5], v[4:5], s[60:61]                      // 000000005BB0: D3B14004 18007904
	v_pk_mul_f32 v[6:7], v[6:7], s[60:61]                      // 000000005BB8: D3B14006 18007906
	v_exp_f32_e32 v4, v4                                       // 000000005BC0: 7E084104
	v_exp_f32_e32 v5, v5                                       // 000000005BC4: 7E0A4105
	v_exp_f32_e32 v6, v6                                       // 000000005BC8: 7E0C4106
	v_exp_f32_e32 v7, v7                                       // 000000005BCC: 7E0E4107
	v_add_f32_e64 v4, v4, 1.0                                  // 000000005BD0: D1010004 0001E504
	v_add_f32_e64 v5, v5, 1.0                                  // 000000005BD8: D1010005 0001E505
	v_add_f32_e64 v6, v6, 1.0                                  // 000000005BE0: D1010006 0001E506
	v_add_f32_e64 v7, v7, 1.0                                  // 000000005BE8: D1010007 0001E507
	v_rcp_f32_e32 v4, v4                                       // 000000005BF0: 7E084504
	v_rcp_f32_e32 v5, v5                                       // 000000005BF4: 7E0A4505
	v_rcp_f32_e32 v6, v6                                       // 000000005BF8: 7E0C4506
	v_rcp_f32_e32 v7, v7                                       // 000000005BFC: 7E0E4507
	v_mul_f32_e32 v132, v132, v4                               // 000000005C00: 0B080984
	v_mul_f32_e32 v133, v133, v5                               // 000000005C04: 0B0A0B85
	v_mul_f32_e32 v134, v134, v6                               // 000000005C08: 0B0C0D86
	v_mul_f32_e32 v135, v135, v7                               // 000000005C0C: 0B0E0F87
	v_mul_f32_e32 v132, v132, v212                             // 000000005C10: 0B09A984
	v_mul_f32_e32 v133, v133, v213                             // 000000005C14: 0B0BAB85
	v_mul_f32_e32 v134, v134, v214                             // 000000005C18: 0B0DAD86
	v_mul_f32_e32 v135, v135, v215                             // 000000005C1C: 0B0FAF87
	v_pk_mul_f32 v[4:5], v[136:137], v[136:137]                // 000000005C20: D3B14004 18031188
	v_pk_mul_f32 v[6:7], v[138:139], v[138:139]                // 000000005C28: D3B14006 1803158A
	v_pk_fma_f32 v[4:5], v[4:5], s[78:79], v[8:9]              // 000000005C30: D3B04004 1C209D04
	v_pk_fma_f32 v[6:7], v[6:7], s[78:79], v[8:9]              // 000000005C38: D3B04006 1C209D06
	v_pk_mul_f32 v[4:5], v[4:5], v[136:137]                    // 000000005C40: D3B14004 18031104
	v_pk_mul_f32 v[6:7], v[6:7], v[138:139]                    // 000000005C48: D3B14006 18031506
	v_pk_mul_f32 v[4:5], v[4:5], s[60:61]                      // 000000005C50: D3B14004 18007904
	v_pk_mul_f32 v[6:7], v[6:7], s[60:61]                      // 000000005C58: D3B14006 18007906
	v_exp_f32_e32 v4, v4                                       // 000000005C60: 7E084104
	v_exp_f32_e32 v5, v5                                       // 000000005C64: 7E0A4105
	v_exp_f32_e32 v6, v6                                       // 000000005C68: 7E0C4106
	v_exp_f32_e32 v7, v7                                       // 000000005C6C: 7E0E4107
	v_add_f32_e64 v4, v4, 1.0                                  // 000000005C70: D1010004 0001E504
	v_add_f32_e64 v5, v5, 1.0                                  // 000000005C78: D1010005 0001E505
	v_add_f32_e64 v6, v6, 1.0                                  // 000000005C80: D1010006 0001E506
	v_add_f32_e64 v7, v7, 1.0                                  // 000000005C88: D1010007 0001E507
	v_rcp_f32_e32 v4, v4                                       // 000000005C90: 7E084504
	v_rcp_f32_e32 v5, v5                                       // 000000005C94: 7E0A4505
	v_rcp_f32_e32 v6, v6                                       // 000000005C98: 7E0C4506
	v_rcp_f32_e32 v7, v7                                       // 000000005C9C: 7E0E4507
	v_mul_f32_e32 v136, v136, v4                               // 000000005CA0: 0B100988
	v_mul_f32_e32 v137, v137, v5                               // 000000005CA4: 0B120B89
	v_mul_f32_e32 v138, v138, v6                               // 000000005CA8: 0B140D8A
	v_mul_f32_e32 v139, v139, v7                               // 000000005CAC: 0B160F8B
	v_mul_f32_e32 v136, v136, v216                             // 000000005CB0: 0B11B188
	v_mul_f32_e32 v137, v137, v217                             // 000000005CB4: 0B13B389
	v_mul_f32_e32 v138, v138, v218                             // 000000005CB8: 0B15B58A
	v_mul_f32_e32 v139, v139, v219                             // 000000005CBC: 0B17B78B
	v_pk_mul_f32 v[4:5], v[140:141], v[140:141]                // 000000005CC0: D3B14004 1803198C
	v_pk_mul_f32 v[6:7], v[142:143], v[142:143]                // 000000005CC8: D3B14006 18031D8E
	v_pk_fma_f32 v[4:5], v[4:5], s[78:79], v[8:9]              // 000000005CD0: D3B04004 1C209D04
	v_pk_fma_f32 v[6:7], v[6:7], s[78:79], v[8:9]              // 000000005CD8: D3B04006 1C209D06
	v_pk_mul_f32 v[4:5], v[4:5], v[140:141]                    // 000000005CE0: D3B14004 18031904
	v_pk_mul_f32 v[6:7], v[6:7], v[142:143]                    // 000000005CE8: D3B14006 18031D06
	v_pk_mul_f32 v[4:5], v[4:5], s[60:61]                      // 000000005CF0: D3B14004 18007904
	v_pk_mul_f32 v[6:7], v[6:7], s[60:61]                      // 000000005CF8: D3B14006 18007906
	v_exp_f32_e32 v4, v4                                       // 000000005D00: 7E084104
	v_exp_f32_e32 v5, v5                                       // 000000005D04: 7E0A4105
	v_exp_f32_e32 v6, v6                                       // 000000005D08: 7E0C4106
	v_exp_f32_e32 v7, v7                                       // 000000005D0C: 7E0E4107
	v_add_f32_e64 v4, v4, 1.0                                  // 000000005D10: D1010004 0001E504
	v_add_f32_e64 v5, v5, 1.0                                  // 000000005D18: D1010005 0001E505
	v_add_f32_e64 v6, v6, 1.0                                  // 000000005D20: D1010006 0001E506
	v_add_f32_e64 v7, v7, 1.0                                  // 000000005D28: D1010007 0001E507
	v_rcp_f32_e32 v4, v4                                       // 000000005D30: 7E084504
	v_rcp_f32_e32 v5, v5                                       // 000000005D34: 7E0A4505
	v_rcp_f32_e32 v6, v6                                       // 000000005D38: 7E0C4506
	v_rcp_f32_e32 v7, v7                                       // 000000005D3C: 7E0E4507
	v_mul_f32_e32 v140, v140, v4                               // 000000005D40: 0B18098C
	v_mul_f32_e32 v141, v141, v5                               // 000000005D44: 0B1A0B8D
	v_mul_f32_e32 v142, v142, v6                               // 000000005D48: 0B1C0D8E
	v_mul_f32_e32 v143, v143, v7                               // 000000005D4C: 0B1E0F8F
	v_mul_f32_e32 v140, v140, v220                             // 000000005D50: 0B19B98C
	v_mul_f32_e32 v141, v141, v221                             // 000000005D54: 0B1BBB8D
	v_mul_f32_e32 v142, v142, v222                             // 000000005D58: 0B1DBD8E
	v_mul_f32_e32 v143, v143, v223                             // 000000005D5C: 0B1FBF8F
	s_branch label_0F59                                        // 000000005D60: BF820280

0000000000005d64 <label_0CD9>:
	v_mul_f32_e64 v4, -v64, s6                                 // 000000005D64: D1050004 20000D40
	v_mul_f32_e64 v5, -v65, s6                                 // 000000005D6C: D1050005 20000D41
	v_mul_f32_e64 v6, -v66, s6                                 // 000000005D74: D1050006 20000D42
	v_mul_f32_e64 v7, -v67, s6                                 // 000000005D7C: D1050007 20000D43
	v_exp_f32_e32 v4, v4                                       // 000000005D84: 7E084104
	v_exp_f32_e32 v5, v5                                       // 000000005D88: 7E0A4105
	v_exp_f32_e32 v6, v6                                       // 000000005D8C: 7E0C4106
	v_exp_f32_e32 v7, v7                                       // 000000005D90: 7E0E4107
	v_add_f32_e64 v4, v4, 1.0                                  // 000000005D94: D1010004 0001E504
	v_add_f32_e64 v5, v5, 1.0                                  // 000000005D9C: D1010005 0001E505
	v_add_f32_e64 v6, v6, 1.0                                  // 000000005DA4: D1010006 0001E506
	v_add_f32_e64 v7, v7, 1.0                                  // 000000005DAC: D1010007 0001E507
	v_rcp_f32_e32 v4, v4                                       // 000000005DB4: 7E084504
	v_rcp_f32_e32 v5, v5                                       // 000000005DB8: 7E0A4505
	v_rcp_f32_e32 v6, v6                                       // 000000005DBC: 7E0C4506
	v_rcp_f32_e32 v7, v7                                       // 000000005DC0: 7E0E4507
	v_mul_f32_e32 v64, v64, v4                                 // 000000005DC4: 0A800940
	v_mul_f32_e32 v65, v65, v5                                 // 000000005DC8: 0A820B41
	v_mul_f32_e32 v66, v66, v6                                 // 000000005DCC: 0A840D42
	v_mul_f32_e32 v67, v67, v7                                 // 000000005DD0: 0A860F43
	v_mul_f32_e32 v64, v64, v144                               // 000000005DD4: 0A812140
	v_mul_f32_e32 v65, v65, v145                               // 000000005DD8: 0A832341
	v_mul_f32_e32 v66, v66, v146                               // 000000005DDC: 0A852542
	v_mul_f32_e32 v67, v67, v147                               // 000000005DE0: 0A872743
	v_mul_f32_e64 v4, -v68, s6                                 // 000000005DE4: D1050004 20000D44
	v_mul_f32_e64 v5, -v69, s6                                 // 000000005DEC: D1050005 20000D45
	v_mul_f32_e64 v6, -v70, s6                                 // 000000005DF4: D1050006 20000D46
	v_mul_f32_e64 v7, -v71, s6                                 // 000000005DFC: D1050007 20000D47
	v_exp_f32_e32 v4, v4                                       // 000000005E04: 7E084104
	v_exp_f32_e32 v5, v5                                       // 000000005E08: 7E0A4105
	v_exp_f32_e32 v6, v6                                       // 000000005E0C: 7E0C4106
	v_exp_f32_e32 v7, v7                                       // 000000005E10: 7E0E4107
	v_add_f32_e64 v4, v4, 1.0                                  // 000000005E14: D1010004 0001E504
	v_add_f32_e64 v5, v5, 1.0                                  // 000000005E1C: D1010005 0001E505
	v_add_f32_e64 v6, v6, 1.0                                  // 000000005E24: D1010006 0001E506
	v_add_f32_e64 v7, v7, 1.0                                  // 000000005E2C: D1010007 0001E507
	v_rcp_f32_e32 v4, v4                                       // 000000005E34: 7E084504
	v_rcp_f32_e32 v5, v5                                       // 000000005E38: 7E0A4505
	v_rcp_f32_e32 v6, v6                                       // 000000005E3C: 7E0C4506
	v_rcp_f32_e32 v7, v7                                       // 000000005E40: 7E0E4507
	v_mul_f32_e32 v68, v68, v4                                 // 000000005E44: 0A880944
	v_mul_f32_e32 v69, v69, v5                                 // 000000005E48: 0A8A0B45
	v_mul_f32_e32 v70, v70, v6                                 // 000000005E4C: 0A8C0D46
	v_mul_f32_e32 v71, v71, v7                                 // 000000005E50: 0A8E0F47
	v_mul_f32_e32 v68, v68, v148                               // 000000005E54: 0A892944
	v_mul_f32_e32 v69, v69, v149                               // 000000005E58: 0A8B2B45
	v_mul_f32_e32 v70, v70, v150                               // 000000005E5C: 0A8D2D46
	v_mul_f32_e32 v71, v71, v151                               // 000000005E60: 0A8F2F47
	v_mul_f32_e64 v4, -v72, s6                                 // 000000005E64: D1050004 20000D48
	v_mul_f32_e64 v5, -v73, s6                                 // 000000005E6C: D1050005 20000D49
	v_mul_f32_e64 v6, -v74, s6                                 // 000000005E74: D1050006 20000D4A
	v_mul_f32_e64 v7, -v75, s6                                 // 000000005E7C: D1050007 20000D4B
	v_exp_f32_e32 v4, v4                                       // 000000005E84: 7E084104
	v_exp_f32_e32 v5, v5                                       // 000000005E88: 7E0A4105
	v_exp_f32_e32 v6, v6                                       // 000000005E8C: 7E0C4106
	v_exp_f32_e32 v7, v7                                       // 000000005E90: 7E0E4107
	v_add_f32_e64 v4, v4, 1.0                                  // 000000005E94: D1010004 0001E504
	v_add_f32_e64 v5, v5, 1.0                                  // 000000005E9C: D1010005 0001E505
	v_add_f32_e64 v6, v6, 1.0                                  // 000000005EA4: D1010006 0001E506
	v_add_f32_e64 v7, v7, 1.0                                  // 000000005EAC: D1010007 0001E507
	v_rcp_f32_e32 v4, v4                                       // 000000005EB4: 7E084504
	v_rcp_f32_e32 v5, v5                                       // 000000005EB8: 7E0A4505
	v_rcp_f32_e32 v6, v6                                       // 000000005EBC: 7E0C4506
	v_rcp_f32_e32 v7, v7                                       // 000000005EC0: 7E0E4507
	v_mul_f32_e32 v72, v72, v4                                 // 000000005EC4: 0A900948
	v_mul_f32_e32 v73, v73, v5                                 // 000000005EC8: 0A920B49
	v_mul_f32_e32 v74, v74, v6                                 // 000000005ECC: 0A940D4A
	v_mul_f32_e32 v75, v75, v7                                 // 000000005ED0: 0A960F4B
	v_mul_f32_e32 v72, v72, v152                               // 000000005ED4: 0A913148
	v_mul_f32_e32 v73, v73, v153                               // 000000005ED8: 0A933349
	v_mul_f32_e32 v74, v74, v154                               // 000000005EDC: 0A95354A
	v_mul_f32_e32 v75, v75, v155                               // 000000005EE0: 0A97374B
	v_mul_f32_e64 v4, -v76, s6                                 // 000000005EE4: D1050004 20000D4C
	v_mul_f32_e64 v5, -v77, s6                                 // 000000005EEC: D1050005 20000D4D
	v_mul_f32_e64 v6, -v78, s6                                 // 000000005EF4: D1050006 20000D4E
	v_mul_f32_e64 v7, -v79, s6                                 // 000000005EFC: D1050007 20000D4F
	v_exp_f32_e32 v4, v4                                       // 000000005F04: 7E084104
	v_exp_f32_e32 v5, v5                                       // 000000005F08: 7E0A4105
	v_exp_f32_e32 v6, v6                                       // 000000005F0C: 7E0C4106
	v_exp_f32_e32 v7, v7                                       // 000000005F10: 7E0E4107
	v_add_f32_e64 v4, v4, 1.0                                  // 000000005F14: D1010004 0001E504
	v_add_f32_e64 v5, v5, 1.0                                  // 000000005F1C: D1010005 0001E505
	v_add_f32_e64 v6, v6, 1.0                                  // 000000005F24: D1010006 0001E506
	v_add_f32_e64 v7, v7, 1.0                                  // 000000005F2C: D1010007 0001E507
	v_rcp_f32_e32 v4, v4                                       // 000000005F34: 7E084504
	v_rcp_f32_e32 v5, v5                                       // 000000005F38: 7E0A4505
	v_rcp_f32_e32 v6, v6                                       // 000000005F3C: 7E0C4506
	v_rcp_f32_e32 v7, v7                                       // 000000005F40: 7E0E4507
	v_mul_f32_e32 v76, v76, v4                                 // 000000005F44: 0A98094C
	v_mul_f32_e32 v77, v77, v5                                 // 000000005F48: 0A9A0B4D
	v_mul_f32_e32 v78, v78, v6                                 // 000000005F4C: 0A9C0D4E
	v_mul_f32_e32 v79, v79, v7                                 // 000000005F50: 0A9E0F4F
	v_mul_f32_e32 v76, v76, v156                               // 000000005F54: 0A99394C
	v_mul_f32_e32 v77, v77, v157                               // 000000005F58: 0A9B3B4D
	v_mul_f32_e32 v78, v78, v158                               // 000000005F5C: 0A9D3D4E
	v_mul_f32_e32 v79, v79, v159                               // 000000005F60: 0A9F3F4F
	v_mul_f32_e64 v4, -v80, s6                                 // 000000005F64: D1050004 20000D50
	v_mul_f32_e64 v5, -v81, s6                                 // 000000005F6C: D1050005 20000D51
	v_mul_f32_e64 v6, -v82, s6                                 // 000000005F74: D1050006 20000D52
	v_mul_f32_e64 v7, -v83, s6                                 // 000000005F7C: D1050007 20000D53
	v_exp_f32_e32 v4, v4                                       // 000000005F84: 7E084104
	v_exp_f32_e32 v5, v5                                       // 000000005F88: 7E0A4105
	v_exp_f32_e32 v6, v6                                       // 000000005F8C: 7E0C4106
	v_exp_f32_e32 v7, v7                                       // 000000005F90: 7E0E4107
	v_add_f32_e64 v4, v4, 1.0                                  // 000000005F94: D1010004 0001E504
	v_add_f32_e64 v5, v5, 1.0                                  // 000000005F9C: D1010005 0001E505
	v_add_f32_e64 v6, v6, 1.0                                  // 000000005FA4: D1010006 0001E506
	v_add_f32_e64 v7, v7, 1.0                                  // 000000005FAC: D1010007 0001E507
	v_rcp_f32_e32 v4, v4                                       // 000000005FB4: 7E084504
	v_rcp_f32_e32 v5, v5                                       // 000000005FB8: 7E0A4505
	v_rcp_f32_e32 v6, v6                                       // 000000005FBC: 7E0C4506
	v_rcp_f32_e32 v7, v7                                       // 000000005FC0: 7E0E4507
	v_mul_f32_e32 v80, v80, v4                                 // 000000005FC4: 0AA00950
	v_mul_f32_e32 v81, v81, v5                                 // 000000005FC8: 0AA20B51
	v_mul_f32_e32 v82, v82, v6                                 // 000000005FCC: 0AA40D52
	v_mul_f32_e32 v83, v83, v7                                 // 000000005FD0: 0AA60F53
	v_mul_f32_e32 v80, v80, v160                               // 000000005FD4: 0AA14150
	v_mul_f32_e32 v81, v81, v161                               // 000000005FD8: 0AA34351
	v_mul_f32_e32 v82, v82, v162                               // 000000005FDC: 0AA54552
	v_mul_f32_e32 v83, v83, v163                               // 000000005FE0: 0AA74753
	v_mul_f32_e64 v4, -v84, s6                                 // 000000005FE4: D1050004 20000D54
	v_mul_f32_e64 v5, -v85, s6                                 // 000000005FEC: D1050005 20000D55
	v_mul_f32_e64 v6, -v86, s6                                 // 000000005FF4: D1050006 20000D56
	v_mul_f32_e64 v7, -v87, s6                                 // 000000005FFC: D1050007 20000D57
	v_exp_f32_e32 v4, v4                                       // 000000006004: 7E084104
	v_exp_f32_e32 v5, v5                                       // 000000006008: 7E0A4105
	v_exp_f32_e32 v6, v6                                       // 00000000600C: 7E0C4106
	v_exp_f32_e32 v7, v7                                       // 000000006010: 7E0E4107
	v_add_f32_e64 v4, v4, 1.0                                  // 000000006014: D1010004 0001E504
	v_add_f32_e64 v5, v5, 1.0                                  // 00000000601C: D1010005 0001E505
	v_add_f32_e64 v6, v6, 1.0                                  // 000000006024: D1010006 0001E506
	v_add_f32_e64 v7, v7, 1.0                                  // 00000000602C: D1010007 0001E507
	v_rcp_f32_e32 v4, v4                                       // 000000006034: 7E084504
	v_rcp_f32_e32 v5, v5                                       // 000000006038: 7E0A4505
	v_rcp_f32_e32 v6, v6                                       // 00000000603C: 7E0C4506
	v_rcp_f32_e32 v7, v7                                       // 000000006040: 7E0E4507
	v_mul_f32_e32 v84, v84, v4                                 // 000000006044: 0AA80954
	v_mul_f32_e32 v85, v85, v5                                 // 000000006048: 0AAA0B55
	v_mul_f32_e32 v86, v86, v6                                 // 00000000604C: 0AAC0D56
	v_mul_f32_e32 v87, v87, v7                                 // 000000006050: 0AAE0F57
	v_mul_f32_e32 v84, v84, v164                               // 000000006054: 0AA94954
	v_mul_f32_e32 v85, v85, v165                               // 000000006058: 0AAB4B55
	v_mul_f32_e32 v86, v86, v166                               // 00000000605C: 0AAD4D56
	v_mul_f32_e32 v87, v87, v167                               // 000000006060: 0AAF4F57
	v_mul_f32_e64 v4, -v88, s6                                 // 000000006064: D1050004 20000D58
	v_mul_f32_e64 v5, -v89, s6                                 // 00000000606C: D1050005 20000D59
	v_mul_f32_e64 v6, -v90, s6                                 // 000000006074: D1050006 20000D5A
	v_mul_f32_e64 v7, -v91, s6                                 // 00000000607C: D1050007 20000D5B
	v_exp_f32_e32 v4, v4                                       // 000000006084: 7E084104
	v_exp_f32_e32 v5, v5                                       // 000000006088: 7E0A4105
	v_exp_f32_e32 v6, v6                                       // 00000000608C: 7E0C4106
	v_exp_f32_e32 v7, v7                                       // 000000006090: 7E0E4107
	v_add_f32_e64 v4, v4, 1.0                                  // 000000006094: D1010004 0001E504
	v_add_f32_e64 v5, v5, 1.0                                  // 00000000609C: D1010005 0001E505
	v_add_f32_e64 v6, v6, 1.0                                  // 0000000060A4: D1010006 0001E506
	v_add_f32_e64 v7, v7, 1.0                                  // 0000000060AC: D1010007 0001E507
	v_rcp_f32_e32 v4, v4                                       // 0000000060B4: 7E084504
	v_rcp_f32_e32 v5, v5                                       // 0000000060B8: 7E0A4505
	v_rcp_f32_e32 v6, v6                                       // 0000000060BC: 7E0C4506
	v_rcp_f32_e32 v7, v7                                       // 0000000060C0: 7E0E4507
	v_mul_f32_e32 v88, v88, v4                                 // 0000000060C4: 0AB00958
	v_mul_f32_e32 v89, v89, v5                                 // 0000000060C8: 0AB20B59
	v_mul_f32_e32 v90, v90, v6                                 // 0000000060CC: 0AB40D5A
	v_mul_f32_e32 v91, v91, v7                                 // 0000000060D0: 0AB60F5B
	v_mul_f32_e32 v88, v88, v168                               // 0000000060D4: 0AB15158
	v_mul_f32_e32 v89, v89, v169                               // 0000000060D8: 0AB35359
	v_mul_f32_e32 v90, v90, v170                               // 0000000060DC: 0AB5555A
	v_mul_f32_e32 v91, v91, v171                               // 0000000060E0: 0AB7575B
	v_mul_f32_e64 v4, -v92, s6                                 // 0000000060E4: D1050004 20000D5C
	v_mul_f32_e64 v5, -v93, s6                                 // 0000000060EC: D1050005 20000D5D
	v_mul_f32_e64 v6, -v94, s6                                 // 0000000060F4: D1050006 20000D5E
	v_mul_f32_e64 v7, -v95, s6                                 // 0000000060FC: D1050007 20000D5F
	v_exp_f32_e32 v4, v4                                       // 000000006104: 7E084104
	v_exp_f32_e32 v5, v5                                       // 000000006108: 7E0A4105
	v_exp_f32_e32 v6, v6                                       // 00000000610C: 7E0C4106
	v_exp_f32_e32 v7, v7                                       // 000000006110: 7E0E4107
	v_add_f32_e64 v4, v4, 1.0                                  // 000000006114: D1010004 0001E504
	v_add_f32_e64 v5, v5, 1.0                                  // 00000000611C: D1010005 0001E505
	v_add_f32_e64 v6, v6, 1.0                                  // 000000006124: D1010006 0001E506
	v_add_f32_e64 v7, v7, 1.0                                  // 00000000612C: D1010007 0001E507
	v_rcp_f32_e32 v4, v4                                       // 000000006134: 7E084504
	v_rcp_f32_e32 v5, v5                                       // 000000006138: 7E0A4505
	v_rcp_f32_e32 v6, v6                                       // 00000000613C: 7E0C4506
	v_rcp_f32_e32 v7, v7                                       // 000000006140: 7E0E4507
	v_mul_f32_e32 v92, v92, v4                                 // 000000006144: 0AB8095C
	v_mul_f32_e32 v93, v93, v5                                 // 000000006148: 0ABA0B5D
	v_mul_f32_e32 v94, v94, v6                                 // 00000000614C: 0ABC0D5E
	v_mul_f32_e32 v95, v95, v7                                 // 000000006150: 0ABE0F5F
	v_mul_f32_e32 v92, v92, v172                               // 000000006154: 0AB9595C
	v_mul_f32_e32 v93, v93, v173                               // 000000006158: 0ABB5B5D
	v_mul_f32_e32 v94, v94, v174                               // 00000000615C: 0ABD5D5E
	v_mul_f32_e32 v95, v95, v175                               // 000000006160: 0ABF5F5F
	v_mul_f32_e64 v4, -v96, s6                                 // 000000006164: D1050004 20000D60
	v_mul_f32_e64 v5, -v97, s6                                 // 00000000616C: D1050005 20000D61
	v_mul_f32_e64 v6, -v98, s6                                 // 000000006174: D1050006 20000D62
	v_mul_f32_e64 v7, -v99, s6                                 // 00000000617C: D1050007 20000D63
	v_exp_f32_e32 v4, v4                                       // 000000006184: 7E084104
	v_exp_f32_e32 v5, v5                                       // 000000006188: 7E0A4105
	v_exp_f32_e32 v6, v6                                       // 00000000618C: 7E0C4106
	v_exp_f32_e32 v7, v7                                       // 000000006190: 7E0E4107
	v_add_f32_e64 v4, v4, 1.0                                  // 000000006194: D1010004 0001E504
	v_add_f32_e64 v5, v5, 1.0                                  // 00000000619C: D1010005 0001E505
	v_add_f32_e64 v6, v6, 1.0                                  // 0000000061A4: D1010006 0001E506
	v_add_f32_e64 v7, v7, 1.0                                  // 0000000061AC: D1010007 0001E507
	v_rcp_f32_e32 v4, v4                                       // 0000000061B4: 7E084504
	v_rcp_f32_e32 v5, v5                                       // 0000000061B8: 7E0A4505
	v_rcp_f32_e32 v6, v6                                       // 0000000061BC: 7E0C4506
	v_rcp_f32_e32 v7, v7                                       // 0000000061C0: 7E0E4507
	v_mul_f32_e32 v96, v96, v4                                 // 0000000061C4: 0AC00960
	v_mul_f32_e32 v97, v97, v5                                 // 0000000061C8: 0AC20B61
	v_mul_f32_e32 v98, v98, v6                                 // 0000000061CC: 0AC40D62
	v_mul_f32_e32 v99, v99, v7                                 // 0000000061D0: 0AC60F63
	v_mul_f32_e32 v96, v96, v176                               // 0000000061D4: 0AC16160
	v_mul_f32_e32 v97, v97, v177                               // 0000000061D8: 0AC36361
	v_mul_f32_e32 v98, v98, v178                               // 0000000061DC: 0AC56562
	v_mul_f32_e32 v99, v99, v179                               // 0000000061E0: 0AC76763
	v_mul_f32_e64 v4, -v100, s6                                // 0000000061E4: D1050004 20000D64
	v_mul_f32_e64 v5, -v101, s6                                // 0000000061EC: D1050005 20000D65
	v_mul_f32_e64 v6, -v102, s6                                // 0000000061F4: D1050006 20000D66
	v_mul_f32_e64 v7, -v103, s6                                // 0000000061FC: D1050007 20000D67
	v_exp_f32_e32 v4, v4                                       // 000000006204: 7E084104
	v_exp_f32_e32 v5, v5                                       // 000000006208: 7E0A4105
	v_exp_f32_e32 v6, v6                                       // 00000000620C: 7E0C4106
	v_exp_f32_e32 v7, v7                                       // 000000006210: 7E0E4107
	v_add_f32_e64 v4, v4, 1.0                                  // 000000006214: D1010004 0001E504
	v_add_f32_e64 v5, v5, 1.0                                  // 00000000621C: D1010005 0001E505
	v_add_f32_e64 v6, v6, 1.0                                  // 000000006224: D1010006 0001E506
	v_add_f32_e64 v7, v7, 1.0                                  // 00000000622C: D1010007 0001E507
	v_rcp_f32_e32 v4, v4                                       // 000000006234: 7E084504
	v_rcp_f32_e32 v5, v5                                       // 000000006238: 7E0A4505
	v_rcp_f32_e32 v6, v6                                       // 00000000623C: 7E0C4506
	v_rcp_f32_e32 v7, v7                                       // 000000006240: 7E0E4507
	v_mul_f32_e32 v100, v100, v4                               // 000000006244: 0AC80964
	v_mul_f32_e32 v101, v101, v5                               // 000000006248: 0ACA0B65
	v_mul_f32_e32 v102, v102, v6                               // 00000000624C: 0ACC0D66
	v_mul_f32_e32 v103, v103, v7                               // 000000006250: 0ACE0F67
	v_mul_f32_e32 v100, v100, v180                             // 000000006254: 0AC96964
	v_mul_f32_e32 v101, v101, v181                             // 000000006258: 0ACB6B65
	v_mul_f32_e32 v102, v102, v182                             // 00000000625C: 0ACD6D66
	v_mul_f32_e32 v103, v103, v183                             // 000000006260: 0ACF6F67
	v_mul_f32_e64 v4, -v104, s6                                // 000000006264: D1050004 20000D68
	v_mul_f32_e64 v5, -v105, s6                                // 00000000626C: D1050005 20000D69
	v_mul_f32_e64 v6, -v106, s6                                // 000000006274: D1050006 20000D6A
	v_mul_f32_e64 v7, -v107, s6                                // 00000000627C: D1050007 20000D6B
	v_exp_f32_e32 v4, v4                                       // 000000006284: 7E084104
	v_exp_f32_e32 v5, v5                                       // 000000006288: 7E0A4105
	v_exp_f32_e32 v6, v6                                       // 00000000628C: 7E0C4106
	v_exp_f32_e32 v7, v7                                       // 000000006290: 7E0E4107
	v_add_f32_e64 v4, v4, 1.0                                  // 000000006294: D1010004 0001E504
	v_add_f32_e64 v5, v5, 1.0                                  // 00000000629C: D1010005 0001E505
	v_add_f32_e64 v6, v6, 1.0                                  // 0000000062A4: D1010006 0001E506
	v_add_f32_e64 v7, v7, 1.0                                  // 0000000062AC: D1010007 0001E507
	v_rcp_f32_e32 v4, v4                                       // 0000000062B4: 7E084504
	v_rcp_f32_e32 v5, v5                                       // 0000000062B8: 7E0A4505
	v_rcp_f32_e32 v6, v6                                       // 0000000062BC: 7E0C4506
	v_rcp_f32_e32 v7, v7                                       // 0000000062C0: 7E0E4507
	v_mul_f32_e32 v104, v104, v4                               // 0000000062C4: 0AD00968
	v_mul_f32_e32 v105, v105, v5                               // 0000000062C8: 0AD20B69
	v_mul_f32_e32 v106, v106, v6                               // 0000000062CC: 0AD40D6A
	v_mul_f32_e32 v107, v107, v7                               // 0000000062D0: 0AD60F6B
	v_mul_f32_e32 v104, v104, v184                             // 0000000062D4: 0AD17168
	v_mul_f32_e32 v105, v105, v185                             // 0000000062D8: 0AD37369
	v_mul_f32_e32 v106, v106, v186                             // 0000000062DC: 0AD5756A
	v_mul_f32_e32 v107, v107, v187                             // 0000000062E0: 0AD7776B
	v_mul_f32_e64 v4, -v108, s6                                // 0000000062E4: D1050004 20000D6C
	v_mul_f32_e64 v5, -v109, s6                                // 0000000062EC: D1050005 20000D6D
	v_mul_f32_e64 v6, -v110, s6                                // 0000000062F4: D1050006 20000D6E
	v_mul_f32_e64 v7, -v111, s6                                // 0000000062FC: D1050007 20000D6F
	v_exp_f32_e32 v4, v4                                       // 000000006304: 7E084104
	v_exp_f32_e32 v5, v5                                       // 000000006308: 7E0A4105
	v_exp_f32_e32 v6, v6                                       // 00000000630C: 7E0C4106
	v_exp_f32_e32 v7, v7                                       // 000000006310: 7E0E4107
	v_add_f32_e64 v4, v4, 1.0                                  // 000000006314: D1010004 0001E504
	v_add_f32_e64 v5, v5, 1.0                                  // 00000000631C: D1010005 0001E505
	v_add_f32_e64 v6, v6, 1.0                                  // 000000006324: D1010006 0001E506
	v_add_f32_e64 v7, v7, 1.0                                  // 00000000632C: D1010007 0001E507
	v_rcp_f32_e32 v4, v4                                       // 000000006334: 7E084504
	v_rcp_f32_e32 v5, v5                                       // 000000006338: 7E0A4505
	v_rcp_f32_e32 v6, v6                                       // 00000000633C: 7E0C4506
	v_rcp_f32_e32 v7, v7                                       // 000000006340: 7E0E4507
	v_mul_f32_e32 v108, v108, v4                               // 000000006344: 0AD8096C
	v_mul_f32_e32 v109, v109, v5                               // 000000006348: 0ADA0B6D
	v_mul_f32_e32 v110, v110, v6                               // 00000000634C: 0ADC0D6E
	v_mul_f32_e32 v111, v111, v7                               // 000000006350: 0ADE0F6F
	v_mul_f32_e32 v108, v108, v188                             // 000000006354: 0AD9796C
	v_mul_f32_e32 v109, v109, v189                             // 000000006358: 0ADB7B6D
	v_mul_f32_e32 v110, v110, v190                             // 00000000635C: 0ADD7D6E
	v_mul_f32_e32 v111, v111, v191                             // 000000006360: 0ADF7F6F
	v_mul_f32_e64 v4, -v112, s6                                // 000000006364: D1050004 20000D70
	v_mul_f32_e64 v5, -v113, s6                                // 00000000636C: D1050005 20000D71
	v_mul_f32_e64 v6, -v114, s6                                // 000000006374: D1050006 20000D72
	v_mul_f32_e64 v7, -v115, s6                                // 00000000637C: D1050007 20000D73
	v_exp_f32_e32 v4, v4                                       // 000000006384: 7E084104
	v_exp_f32_e32 v5, v5                                       // 000000006388: 7E0A4105
	v_exp_f32_e32 v6, v6                                       // 00000000638C: 7E0C4106
	v_exp_f32_e32 v7, v7                                       // 000000006390: 7E0E4107
	v_add_f32_e64 v4, v4, 1.0                                  // 000000006394: D1010004 0001E504
	v_add_f32_e64 v5, v5, 1.0                                  // 00000000639C: D1010005 0001E505
	v_add_f32_e64 v6, v6, 1.0                                  // 0000000063A4: D1010006 0001E506
	v_add_f32_e64 v7, v7, 1.0                                  // 0000000063AC: D1010007 0001E507
	v_rcp_f32_e32 v4, v4                                       // 0000000063B4: 7E084504
	v_rcp_f32_e32 v5, v5                                       // 0000000063B8: 7E0A4505
	v_rcp_f32_e32 v6, v6                                       // 0000000063BC: 7E0C4506
	v_rcp_f32_e32 v7, v7                                       // 0000000063C0: 7E0E4507
	v_mul_f32_e32 v112, v112, v4                               // 0000000063C4: 0AE00970
	v_mul_f32_e32 v113, v113, v5                               // 0000000063C8: 0AE20B71
	v_mul_f32_e32 v114, v114, v6                               // 0000000063CC: 0AE40D72
	v_mul_f32_e32 v115, v115, v7                               // 0000000063D0: 0AE60F73
	v_mul_f32_e32 v112, v112, v192                             // 0000000063D4: 0AE18170
	v_mul_f32_e32 v113, v113, v193                             // 0000000063D8: 0AE38371
	v_mul_f32_e32 v114, v114, v194                             // 0000000063DC: 0AE58572
	v_mul_f32_e32 v115, v115, v195                             // 0000000063E0: 0AE78773
	v_mul_f32_e64 v4, -v116, s6                                // 0000000063E4: D1050004 20000D74
	v_mul_f32_e64 v5, -v117, s6                                // 0000000063EC: D1050005 20000D75
	v_mul_f32_e64 v6, -v118, s6                                // 0000000063F4: D1050006 20000D76
	v_mul_f32_e64 v7, -v119, s6                                // 0000000063FC: D1050007 20000D77
	v_exp_f32_e32 v4, v4                                       // 000000006404: 7E084104
	v_exp_f32_e32 v5, v5                                       // 000000006408: 7E0A4105
	v_exp_f32_e32 v6, v6                                       // 00000000640C: 7E0C4106
	v_exp_f32_e32 v7, v7                                       // 000000006410: 7E0E4107
	v_add_f32_e64 v4, v4, 1.0                                  // 000000006414: D1010004 0001E504
	v_add_f32_e64 v5, v5, 1.0                                  // 00000000641C: D1010005 0001E505
	v_add_f32_e64 v6, v6, 1.0                                  // 000000006424: D1010006 0001E506
	v_add_f32_e64 v7, v7, 1.0                                  // 00000000642C: D1010007 0001E507
	v_rcp_f32_e32 v4, v4                                       // 000000006434: 7E084504
	v_rcp_f32_e32 v5, v5                                       // 000000006438: 7E0A4505
	v_rcp_f32_e32 v6, v6                                       // 00000000643C: 7E0C4506
	v_rcp_f32_e32 v7, v7                                       // 000000006440: 7E0E4507
	v_mul_f32_e32 v116, v116, v4                               // 000000006444: 0AE80974
	v_mul_f32_e32 v117, v117, v5                               // 000000006448: 0AEA0B75
	v_mul_f32_e32 v118, v118, v6                               // 00000000644C: 0AEC0D76
	v_mul_f32_e32 v119, v119, v7                               // 000000006450: 0AEE0F77
	v_mul_f32_e32 v116, v116, v196                             // 000000006454: 0AE98974
	v_mul_f32_e32 v117, v117, v197                             // 000000006458: 0AEB8B75
	v_mul_f32_e32 v118, v118, v198                             // 00000000645C: 0AED8D76
	v_mul_f32_e32 v119, v119, v199                             // 000000006460: 0AEF8F77
	v_mul_f32_e64 v4, -v120, s6                                // 000000006464: D1050004 20000D78
	v_mul_f32_e64 v5, -v121, s6                                // 00000000646C: D1050005 20000D79
	v_mul_f32_e64 v6, -v122, s6                                // 000000006474: D1050006 20000D7A
	v_mul_f32_e64 v7, -v123, s6                                // 00000000647C: D1050007 20000D7B
	v_exp_f32_e32 v4, v4                                       // 000000006484: 7E084104
	v_exp_f32_e32 v5, v5                                       // 000000006488: 7E0A4105
	v_exp_f32_e32 v6, v6                                       // 00000000648C: 7E0C4106
	v_exp_f32_e32 v7, v7                                       // 000000006490: 7E0E4107
	v_add_f32_e64 v4, v4, 1.0                                  // 000000006494: D1010004 0001E504
	v_add_f32_e64 v5, v5, 1.0                                  // 00000000649C: D1010005 0001E505
	v_add_f32_e64 v6, v6, 1.0                                  // 0000000064A4: D1010006 0001E506
	v_add_f32_e64 v7, v7, 1.0                                  // 0000000064AC: D1010007 0001E507
	v_rcp_f32_e32 v4, v4                                       // 0000000064B4: 7E084504
	v_rcp_f32_e32 v5, v5                                       // 0000000064B8: 7E0A4505
	v_rcp_f32_e32 v6, v6                                       // 0000000064BC: 7E0C4506
	v_rcp_f32_e32 v7, v7                                       // 0000000064C0: 7E0E4507
	v_mul_f32_e32 v120, v120, v4                               // 0000000064C4: 0AF00978
	v_mul_f32_e32 v121, v121, v5                               // 0000000064C8: 0AF20B79
	v_mul_f32_e32 v122, v122, v6                               // 0000000064CC: 0AF40D7A
	v_mul_f32_e32 v123, v123, v7                               // 0000000064D0: 0AF60F7B
	v_mul_f32_e32 v120, v120, v200                             // 0000000064D4: 0AF19178
	v_mul_f32_e32 v121, v121, v201                             // 0000000064D8: 0AF39379
	v_mul_f32_e32 v122, v122, v202                             // 0000000064DC: 0AF5957A
	v_mul_f32_e32 v123, v123, v203                             // 0000000064E0: 0AF7977B
	v_mul_f32_e64 v4, -v124, s6                                // 0000000064E4: D1050004 20000D7C
	v_mul_f32_e64 v5, -v125, s6                                // 0000000064EC: D1050005 20000D7D
	v_mul_f32_e64 v6, -v126, s6                                // 0000000064F4: D1050006 20000D7E
	v_mul_f32_e64 v7, -v127, s6                                // 0000000064FC: D1050007 20000D7F
	v_exp_f32_e32 v4, v4                                       // 000000006504: 7E084104
	v_exp_f32_e32 v5, v5                                       // 000000006508: 7E0A4105
	v_exp_f32_e32 v6, v6                                       // 00000000650C: 7E0C4106
	v_exp_f32_e32 v7, v7                                       // 000000006510: 7E0E4107
	v_add_f32_e64 v4, v4, 1.0                                  // 000000006514: D1010004 0001E504
	v_add_f32_e64 v5, v5, 1.0                                  // 00000000651C: D1010005 0001E505
	v_add_f32_e64 v6, v6, 1.0                                  // 000000006524: D1010006 0001E506
	v_add_f32_e64 v7, v7, 1.0                                  // 00000000652C: D1010007 0001E507
	v_rcp_f32_e32 v4, v4                                       // 000000006534: 7E084504
	v_rcp_f32_e32 v5, v5                                       // 000000006538: 7E0A4505
	v_rcp_f32_e32 v6, v6                                       // 00000000653C: 7E0C4506
	v_rcp_f32_e32 v7, v7                                       // 000000006540: 7E0E4507
	v_mul_f32_e32 v124, v124, v4                               // 000000006544: 0AF8097C
	v_mul_f32_e32 v125, v125, v5                               // 000000006548: 0AFA0B7D
	v_mul_f32_e32 v126, v126, v6                               // 00000000654C: 0AFC0D7E
	v_mul_f32_e32 v127, v127, v7                               // 000000006550: 0AFE0F7F
	v_mul_f32_e32 v124, v124, v204                             // 000000006554: 0AF9997C
	v_mul_f32_e32 v125, v125, v205                             // 000000006558: 0AFB9B7D
	v_mul_f32_e32 v126, v126, v206                             // 00000000655C: 0AFD9D7E
	v_mul_f32_e32 v127, v127, v207                             // 000000006560: 0AFF9F7F
	v_mul_f32_e64 v4, -v128, s6                                // 000000006564: D1050004 20000D80
	v_mul_f32_e64 v5, -v129, s6                                // 00000000656C: D1050005 20000D81
	v_mul_f32_e64 v6, -v130, s6                                // 000000006574: D1050006 20000D82
	v_mul_f32_e64 v7, -v131, s6                                // 00000000657C: D1050007 20000D83
	v_exp_f32_e32 v4, v4                                       // 000000006584: 7E084104
	v_exp_f32_e32 v5, v5                                       // 000000006588: 7E0A4105
	v_exp_f32_e32 v6, v6                                       // 00000000658C: 7E0C4106
	v_exp_f32_e32 v7, v7                                       // 000000006590: 7E0E4107
	v_add_f32_e64 v4, v4, 1.0                                  // 000000006594: D1010004 0001E504
	v_add_f32_e64 v5, v5, 1.0                                  // 00000000659C: D1010005 0001E505
	v_add_f32_e64 v6, v6, 1.0                                  // 0000000065A4: D1010006 0001E506
	v_add_f32_e64 v7, v7, 1.0                                  // 0000000065AC: D1010007 0001E507
	v_rcp_f32_e32 v4, v4                                       // 0000000065B4: 7E084504
	v_rcp_f32_e32 v5, v5                                       // 0000000065B8: 7E0A4505
	v_rcp_f32_e32 v6, v6                                       // 0000000065BC: 7E0C4506
	v_rcp_f32_e32 v7, v7                                       // 0000000065C0: 7E0E4507
	v_mul_f32_e32 v128, v128, v4                               // 0000000065C4: 0B000980
	v_mul_f32_e32 v129, v129, v5                               // 0000000065C8: 0B020B81
	v_mul_f32_e32 v130, v130, v6                               // 0000000065CC: 0B040D82
	v_mul_f32_e32 v131, v131, v7                               // 0000000065D0: 0B060F83
	v_mul_f32_e32 v128, v128, v208                             // 0000000065D4: 0B01A180
	v_mul_f32_e32 v129, v129, v209                             // 0000000065D8: 0B03A381
	v_mul_f32_e32 v130, v130, v210                             // 0000000065DC: 0B05A582
	v_mul_f32_e32 v131, v131, v211                             // 0000000065E0: 0B07A783
	v_mul_f32_e64 v4, -v132, s6                                // 0000000065E4: D1050004 20000D84
	v_mul_f32_e64 v5, -v133, s6                                // 0000000065EC: D1050005 20000D85
	v_mul_f32_e64 v6, -v134, s6                                // 0000000065F4: D1050006 20000D86
	v_mul_f32_e64 v7, -v135, s6                                // 0000000065FC: D1050007 20000D87
	v_exp_f32_e32 v4, v4                                       // 000000006604: 7E084104
	v_exp_f32_e32 v5, v5                                       // 000000006608: 7E0A4105
	v_exp_f32_e32 v6, v6                                       // 00000000660C: 7E0C4106
	v_exp_f32_e32 v7, v7                                       // 000000006610: 7E0E4107
	v_add_f32_e64 v4, v4, 1.0                                  // 000000006614: D1010004 0001E504
	v_add_f32_e64 v5, v5, 1.0                                  // 00000000661C: D1010005 0001E505
	v_add_f32_e64 v6, v6, 1.0                                  // 000000006624: D1010006 0001E506
	v_add_f32_e64 v7, v7, 1.0                                  // 00000000662C: D1010007 0001E507
	v_rcp_f32_e32 v4, v4                                       // 000000006634: 7E084504
	v_rcp_f32_e32 v5, v5                                       // 000000006638: 7E0A4505
	v_rcp_f32_e32 v6, v6                                       // 00000000663C: 7E0C4506
	v_rcp_f32_e32 v7, v7                                       // 000000006640: 7E0E4507
	v_mul_f32_e32 v132, v132, v4                               // 000000006644: 0B080984
	v_mul_f32_e32 v133, v133, v5                               // 000000006648: 0B0A0B85
	v_mul_f32_e32 v134, v134, v6                               // 00000000664C: 0B0C0D86
	v_mul_f32_e32 v135, v135, v7                               // 000000006650: 0B0E0F87
	v_mul_f32_e32 v132, v132, v212                             // 000000006654: 0B09A984
	v_mul_f32_e32 v133, v133, v213                             // 000000006658: 0B0BAB85
	v_mul_f32_e32 v134, v134, v214                             // 00000000665C: 0B0DAD86
	v_mul_f32_e32 v135, v135, v215                             // 000000006660: 0B0FAF87
	v_mul_f32_e64 v4, -v136, s6                                // 000000006664: D1050004 20000D88
	v_mul_f32_e64 v5, -v137, s6                                // 00000000666C: D1050005 20000D89
	v_mul_f32_e64 v6, -v138, s6                                // 000000006674: D1050006 20000D8A
	v_mul_f32_e64 v7, -v139, s6                                // 00000000667C: D1050007 20000D8B
	v_exp_f32_e32 v4, v4                                       // 000000006684: 7E084104
	v_exp_f32_e32 v5, v5                                       // 000000006688: 7E0A4105
	v_exp_f32_e32 v6, v6                                       // 00000000668C: 7E0C4106
	v_exp_f32_e32 v7, v7                                       // 000000006690: 7E0E4107
	v_add_f32_e64 v4, v4, 1.0                                  // 000000006694: D1010004 0001E504
	v_add_f32_e64 v5, v5, 1.0                                  // 00000000669C: D1010005 0001E505
	v_add_f32_e64 v6, v6, 1.0                                  // 0000000066A4: D1010006 0001E506
	v_add_f32_e64 v7, v7, 1.0                                  // 0000000066AC: D1010007 0001E507
	v_rcp_f32_e32 v4, v4                                       // 0000000066B4: 7E084504
	v_rcp_f32_e32 v5, v5                                       // 0000000066B8: 7E0A4505
	v_rcp_f32_e32 v6, v6                                       // 0000000066BC: 7E0C4506
	v_rcp_f32_e32 v7, v7                                       // 0000000066C0: 7E0E4507
	v_mul_f32_e32 v136, v136, v4                               // 0000000066C4: 0B100988
	v_mul_f32_e32 v137, v137, v5                               // 0000000066C8: 0B120B89
	v_mul_f32_e32 v138, v138, v6                               // 0000000066CC: 0B140D8A
	v_mul_f32_e32 v139, v139, v7                               // 0000000066D0: 0B160F8B
	v_mul_f32_e32 v136, v136, v216                             // 0000000066D4: 0B11B188
	v_mul_f32_e32 v137, v137, v217                             // 0000000066D8: 0B13B389
	v_mul_f32_e32 v138, v138, v218                             // 0000000066DC: 0B15B58A
	v_mul_f32_e32 v139, v139, v219                             // 0000000066E0: 0B17B78B
	v_mul_f32_e64 v4, -v140, s6                                // 0000000066E4: D1050004 20000D8C
	v_mul_f32_e64 v5, -v141, s6                                // 0000000066EC: D1050005 20000D8D
	v_mul_f32_e64 v6, -v142, s6                                // 0000000066F4: D1050006 20000D8E
	v_mul_f32_e64 v7, -v143, s6                                // 0000000066FC: D1050007 20000D8F
	v_exp_f32_e32 v4, v4                                       // 000000006704: 7E084104
	v_exp_f32_e32 v5, v5                                       // 000000006708: 7E0A4105
	v_exp_f32_e32 v6, v6                                       // 00000000670C: 7E0C4106
	v_exp_f32_e32 v7, v7                                       // 000000006710: 7E0E4107
	v_add_f32_e64 v4, v4, 1.0                                  // 000000006714: D1010004 0001E504
	v_add_f32_e64 v5, v5, 1.0                                  // 00000000671C: D1010005 0001E505
	v_add_f32_e64 v6, v6, 1.0                                  // 000000006724: D1010006 0001E506
	v_add_f32_e64 v7, v7, 1.0                                  // 00000000672C: D1010007 0001E507
	v_rcp_f32_e32 v4, v4                                       // 000000006734: 7E084504
	v_rcp_f32_e32 v5, v5                                       // 000000006738: 7E0A4505
	v_rcp_f32_e32 v6, v6                                       // 00000000673C: 7E0C4506
	v_rcp_f32_e32 v7, v7                                       // 000000006740: 7E0E4507
	v_mul_f32_e32 v140, v140, v4                               // 000000006744: 0B18098C
	v_mul_f32_e32 v141, v141, v5                               // 000000006748: 0B1A0B8D
	v_mul_f32_e32 v142, v142, v6                               // 00000000674C: 0B1C0D8E
	v_mul_f32_e32 v143, v143, v7                               // 000000006750: 0B1E0F8F
	v_mul_f32_e32 v140, v140, v220                             // 000000006754: 0B19B98C
	v_mul_f32_e32 v141, v141, v221                             // 000000006758: 0B1BBB8D
	v_mul_f32_e32 v142, v142, v222                             // 00000000675C: 0B1DBD8E
	v_mul_f32_e32 v143, v143, v223                             // 000000006760: 0B1FBF8F

0000000000006764 <label_0F59>:
	s_cmp_eq_u32 s7, 0                                         // 000000006764: BF068007
	s_cbranch_scc0 label_0F6C                                  // 000000006768: BF840011
	v_and_b32_e32 v4, 15, v0                                   // 00000000676C: 2608008F
	v_lshlrev_b32_e32 v4, 2, v4                                // 000000006770: 24080882
	buffer_load_dword v28, v4, s[12:15], 0 offen               // 000000006774: E0501000 80031C04
	v_add_u32_e32 v4, 64, v4                                   // 00000000677C: 680808C0
	buffer_load_dword v29, v4, s[12:15], 0 offen               // 000000006780: E0501000 80031D04
	v_add_u32_e32 v4, 64, v4                                   // 000000006788: 680808C0
	buffer_load_dword v30, v4, s[12:15], 0 offen               // 00000000678C: E0501000 80031E04
	v_add_u32_e32 v4, 64, v4                                   // 000000006794: 680808C0
	buffer_load_dword v31, v4, s[12:15], 0 offen               // 000000006798: E0501000 80031F04
	v_add_u32_e32 v4, 64, v4                                   // 0000000067A0: 680808C0
	buffer_load_dword v32, v4, s[12:15], 0 offen               // 0000000067A4: E0501000 80032004
	v_add_u32_e32 v4, 64, v4                                   // 0000000067AC: 680808C0

00000000000067b0 <label_0F6C>:
	v_lshlrev_b32_e32 v4, 2, v0                                // 0000000067B0: 24080082
	s_mul_i32 s60, 0x100, s7                                   // 0000000067B4: 923C07FF 00000100
	v_add_u32_e32 v154, s60, v4                                // 0000000067BC: 6934083C
	v_and_b32_e32 v4, 15, v0                                   // 0000000067C0: 2608008F
	v_lshlrev_b32_e32 v155, 2, v4                              // 0000000067C4: 25360882
	s_waitcnt lgkmcnt(0)                                       // 0000000067C8: BF8CC07F
	s_barrier                                                  // 0000000067CC: BF8A0000
	v_mov_b32_e32 v144, 0x358637bd                             // 0000000067D0: 7F2002FF 358637BD
	v_max3_f32 v144, |v64|, |v65|, v144                        // 0000000067D8: D1D30390 06428340
	v_max3_f32 v144, |v66|, |v67|, v144                        // 0000000067E0: D1D30390 06428742
	v_max3_f32 v144, |v84|, |v85|, v144                        // 0000000067E8: D1D30390 0642AB54
	v_max3_f32 v144, |v86|, |v87|, v144                        // 0000000067F0: D1D30390 0642AF56
	ds_write_b32 v154, v144                                    // 0000000067F8: D81A0000 0000909A
	s_waitcnt lgkmcnt(0)                                       // 000000006800: BF8CC07F
	s_barrier                                                  // 000000006804: BF8A0000
	ds_read_b32 v4, v155                                       // 000000006808: D86C0000 0400009B
	ds_read_b32 v5, v155 offset:64                             // 000000006810: D86C0040 0500009B
	ds_read_b32 v6, v155 offset:128                            // 000000006818: D86C0080 0600009B
	ds_read_b32 v7, v155 offset:192                            // 000000006820: D86C00C0 0700009B
	ds_read_b32 v8, v155 offset:256                            // 000000006828: D86C0100 0800009B
	ds_read_b32 v9, v155 offset:320                            // 000000006830: D86C0140 0900009B
	ds_read_b32 v10, v155 offset:384                           // 000000006838: D86C0180 0A00009B
	ds_read_b32 v11, v155 offset:448                           // 000000006840: D86C01C0 0B00009B
	ds_read_b32 v12, v155 offset:512                           // 000000006848: D86C0200 0C00009B
	ds_read_b32 v13, v155 offset:576                           // 000000006850: D86C0240 0D00009B
	ds_read_b32 v14, v155 offset:640                           // 000000006858: D86C0280 0E00009B
	ds_read_b32 v15, v155 offset:704                           // 000000006860: D86C02C0 0F00009B
	ds_read_b32 v16, v155 offset:768                           // 000000006868: D86C0300 1000009B
	ds_read_b32 v17, v155 offset:832                           // 000000006870: D86C0340 1100009B
	ds_read_b32 v18, v155 offset:896                           // 000000006878: D86C0380 1200009B
	ds_read_b32 v19, v155 offset:960                           // 000000006880: D86C03C0 1300009B
	s_waitcnt lgkmcnt(0)                                       // 000000006888: BF8CC07F
	s_barrier                                                  // 00000000688C: BF8A0000
	v_max3_f32 v144, |v4|, |v5|, v144                          // 000000006890: D1D30390 06420B04
	v_max3_f32 v144, |v6|, |v7|, v144                          // 000000006898: D1D30390 06420F06
	v_max3_f32 v144, |v8|, |v9|, v144                          // 0000000068A0: D1D30390 06421308
	v_max3_f32 v144, |v10|, |v11|, v144                        // 0000000068A8: D1D30390 0642170A
	v_max3_f32 v144, |v12|, |v13|, v144                        // 0000000068B0: D1D30390 06421B0C
	v_max3_f32 v144, |v14|, |v15|, v144                        // 0000000068B8: D1D30390 06421F0E
	v_max3_f32 v144, |v16|, |v17|, v144                        // 0000000068C0: D1D30390 06422310
	v_max3_f32 v144, |v18|, |v19|, v144                        // 0000000068C8: D1D30390 06422712
	v_rcp_f32_e32 v144, v144                                   // 0000000068D0: 7F204590
	v_mov_b32_e32 v4, 0x43700000                               // 0000000068D4: 7E0802FF 43700000
	v_mul_f32_e32 v144, v4, v144                               // 0000000068DC: 0B212104
	v_mov_b32_e32 v4, v144                                     // 0000000068E0: 7E080390
	v_mov_b32_e32 v5, v4                                       // 0000000068E4: 7E0A0304
	v_pk_mul_f32 v[64:65], v[4:5], v[64:65]                    // 0000000068E8: D3B14040 18028104
	v_pk_mul_f32 v[66:67], v[4:5], v[66:67]                    // 0000000068F0: D3B14042 18028504
	v_cvt_pk_fp8_f32 v64, v64, v65                             // 0000000068F8: D2A20040 00028340
	v_cvt_pk_fp8_f32 v64, v66, v67 op_sel:[0,0,1]              // 000000006900: D2A24040 00028742
	v_pk_mul_f32 v[84:85], v[4:5], v[84:85]                    // 000000006908: D3B14054 1802A904
	v_pk_mul_f32 v[86:87], v[4:5], v[86:87]                    // 000000006910: D3B14056 1802AD04
	v_cvt_pk_fp8_f32 v84, v84, v85                             // 000000006918: D2A20054 0002AB54
	v_cvt_pk_fp8_f32 v84, v86, v87 op_sel:[0,0,1]              // 000000006920: D2A24054 0002AF56
	v_rcp_f32_e32 v144, v144                                   // 000000006928: 7F204590
	v_mov_b32_e32 v149, 0x358637bd                             // 00000000692C: 7F2A02FF 358637BD
	v_max3_f32 v149, |v104|, |v105|, v149                      // 000000006934: D1D30395 0656D368
	v_max3_f32 v149, |v106|, |v107|, v149                      // 00000000693C: D1D30395 0656D76A
	v_max3_f32 v149, |v124|, |v125|, v149                      // 000000006944: D1D30395 0656FB7C
	v_max3_f32 v149, |v126|, |v127|, v149                      // 00000000694C: D1D30395 0656FF7E
	ds_write_b32 v154, v149                                    // 000000006954: D81A0000 0000959A
	s_waitcnt lgkmcnt(0)                                       // 00000000695C: BF8CC07F
	s_barrier                                                  // 000000006960: BF8A0000
	ds_read_b32 v4, v155                                       // 000000006964: D86C0000 0400009B
	ds_read_b32 v5, v155 offset:64                             // 00000000696C: D86C0040 0500009B
	ds_read_b32 v6, v155 offset:128                            // 000000006974: D86C0080 0600009B
	ds_read_b32 v7, v155 offset:192                            // 00000000697C: D86C00C0 0700009B
	ds_read_b32 v8, v155 offset:256                            // 000000006984: D86C0100 0800009B
	ds_read_b32 v9, v155 offset:320                            // 00000000698C: D86C0140 0900009B
	ds_read_b32 v10, v155 offset:384                           // 000000006994: D86C0180 0A00009B
	ds_read_b32 v11, v155 offset:448                           // 00000000699C: D86C01C0 0B00009B
	ds_read_b32 v12, v155 offset:512                           // 0000000069A4: D86C0200 0C00009B
	ds_read_b32 v13, v155 offset:576                           // 0000000069AC: D86C0240 0D00009B
	ds_read_b32 v14, v155 offset:640                           // 0000000069B4: D86C0280 0E00009B
	ds_read_b32 v15, v155 offset:704                           // 0000000069BC: D86C02C0 0F00009B
	ds_read_b32 v16, v155 offset:768                           // 0000000069C4: D86C0300 1000009B
	ds_read_b32 v17, v155 offset:832                           // 0000000069CC: D86C0340 1100009B
	ds_read_b32 v18, v155 offset:896                           // 0000000069D4: D86C0380 1200009B
	ds_read_b32 v19, v155 offset:960                           // 0000000069DC: D86C03C0 1300009B
	s_waitcnt lgkmcnt(0)                                       // 0000000069E4: BF8CC07F
	s_barrier                                                  // 0000000069E8: BF8A0000
	v_max3_f32 v149, |v4|, |v5|, v149                          // 0000000069EC: D1D30395 06560B04
	v_max3_f32 v149, |v6|, |v7|, v149                          // 0000000069F4: D1D30395 06560F06
	v_max3_f32 v149, |v8|, |v9|, v149                          // 0000000069FC: D1D30395 06561308
	v_max3_f32 v149, |v10|, |v11|, v149                        // 000000006A04: D1D30395 0656170A
	v_max3_f32 v149, |v12|, |v13|, v149                        // 000000006A0C: D1D30395 06561B0C
	v_max3_f32 v149, |v14|, |v15|, v149                        // 000000006A14: D1D30395 06561F0E
	v_max3_f32 v149, |v16|, |v17|, v149                        // 000000006A1C: D1D30395 06562310
	v_max3_f32 v149, |v18|, |v19|, v149                        // 000000006A24: D1D30395 06562712
	v_rcp_f32_e32 v149, v149                                   // 000000006A2C: 7F2A4595
	v_mov_b32_e32 v4, 0x43700000                               // 000000006A30: 7E0802FF 43700000
	v_mul_f32_e32 v149, v4, v149                               // 000000006A38: 0B2B2B04
	v_mov_b32_e32 v4, v149                                     // 000000006A3C: 7E080395
	v_mov_b32_e32 v5, v4                                       // 000000006A40: 7E0A0304
	v_pk_mul_f32 v[104:105], v[4:5], v[104:105]                // 000000006A44: D3B14068 1802D104
	v_pk_mul_f32 v[106:107], v[4:5], v[106:107]                // 000000006A4C: D3B1406A 1802D504
	v_cvt_pk_fp8_f32 v104, v104, v105                          // 000000006A54: D2A20068 0002D368
	v_cvt_pk_fp8_f32 v104, v106, v107 op_sel:[0,0,1]           // 000000006A5C: D2A24068 0002D76A
	v_pk_mul_f32 v[124:125], v[4:5], v[124:125]                // 000000006A64: D3B1407C 1802F904
	v_pk_mul_f32 v[126:127], v[4:5], v[126:127]                // 000000006A6C: D3B1407E 1802FD04
	v_cvt_pk_fp8_f32 v124, v124, v125                          // 000000006A74: D2A2007C 0002FB7C
	v_cvt_pk_fp8_f32 v124, v126, v127 op_sel:[0,0,1]           // 000000006A7C: D2A2407C 0002FF7E
	v_rcp_f32_e32 v149, v149                                   // 000000006A84: 7F2A4595
	v_mov_b32_e32 v145, 0x358637bd                             // 000000006A88: 7F2202FF 358637BD
	v_max3_f32 v145, |v68|, |v69|, v145                        // 000000006A90: D1D30391 06468B44
	v_max3_f32 v145, |v70|, |v71|, v145                        // 000000006A98: D1D30391 06468F46
	v_max3_f32 v145, |v88|, |v89|, v145                        // 000000006AA0: D1D30391 0646B358
	v_max3_f32 v145, |v90|, |v91|, v145                        // 000000006AA8: D1D30391 0646B75A
	ds_write_b32 v154, v145                                    // 000000006AB0: D81A0000 0000919A
	s_waitcnt lgkmcnt(0)                                       // 000000006AB8: BF8CC07F
	s_barrier                                                  // 000000006ABC: BF8A0000
	ds_read_b32 v4, v155                                       // 000000006AC0: D86C0000 0400009B
	ds_read_b32 v5, v155 offset:64                             // 000000006AC8: D86C0040 0500009B
	ds_read_b32 v6, v155 offset:128                            // 000000006AD0: D86C0080 0600009B
	ds_read_b32 v7, v155 offset:192                            // 000000006AD8: D86C00C0 0700009B
	ds_read_b32 v8, v155 offset:256                            // 000000006AE0: D86C0100 0800009B
	ds_read_b32 v9, v155 offset:320                            // 000000006AE8: D86C0140 0900009B
	ds_read_b32 v10, v155 offset:384                           // 000000006AF0: D86C0180 0A00009B
	ds_read_b32 v11, v155 offset:448                           // 000000006AF8: D86C01C0 0B00009B
	ds_read_b32 v12, v155 offset:512                           // 000000006B00: D86C0200 0C00009B
	ds_read_b32 v13, v155 offset:576                           // 000000006B08: D86C0240 0D00009B
	ds_read_b32 v14, v155 offset:640                           // 000000006B10: D86C0280 0E00009B
	ds_read_b32 v15, v155 offset:704                           // 000000006B18: D86C02C0 0F00009B
	ds_read_b32 v16, v155 offset:768                           // 000000006B20: D86C0300 1000009B
	ds_read_b32 v17, v155 offset:832                           // 000000006B28: D86C0340 1100009B
	ds_read_b32 v18, v155 offset:896                           // 000000006B30: D86C0380 1200009B
	ds_read_b32 v19, v155 offset:960                           // 000000006B38: D86C03C0 1300009B
	s_waitcnt lgkmcnt(0)                                       // 000000006B40: BF8CC07F
	s_barrier                                                  // 000000006B44: BF8A0000
	v_max3_f32 v145, |v4|, |v5|, v145                          // 000000006B48: D1D30391 06460B04
	v_max3_f32 v145, |v6|, |v7|, v145                          // 000000006B50: D1D30391 06460F06
	v_max3_f32 v145, |v8|, |v9|, v145                          // 000000006B58: D1D30391 06461308
	v_max3_f32 v145, |v10|, |v11|, v145                        // 000000006B60: D1D30391 0646170A
	v_max3_f32 v145, |v12|, |v13|, v145                        // 000000006B68: D1D30391 06461B0C
	v_max3_f32 v145, |v14|, |v15|, v145                        // 000000006B70: D1D30391 06461F0E
	v_max3_f32 v145, |v16|, |v17|, v145                        // 000000006B78: D1D30391 06462310
	v_max3_f32 v145, |v18|, |v19|, v145                        // 000000006B80: D1D30391 06462712
	v_rcp_f32_e32 v145, v145                                   // 000000006B88: 7F224591
	v_mov_b32_e32 v4, 0x43700000                               // 000000006B8C: 7E0802FF 43700000
	v_mul_f32_e32 v145, v4, v145                               // 000000006B94: 0B232304
	v_mov_b32_e32 v4, v145                                     // 000000006B98: 7E080391
	v_mov_b32_e32 v5, v4                                       // 000000006B9C: 7E0A0304
	v_pk_mul_f32 v[68:69], v[4:5], v[68:69]                    // 000000006BA0: D3B14044 18028904
	v_pk_mul_f32 v[70:71], v[4:5], v[70:71]                    // 000000006BA8: D3B14046 18028D04
	v_cvt_pk_fp8_f32 v68, v68, v69                             // 000000006BB0: D2A20044 00028B44
	v_cvt_pk_fp8_f32 v68, v70, v71 op_sel:[0,0,1]              // 000000006BB8: D2A24044 00028F46
	v_pk_mul_f32 v[88:89], v[4:5], v[88:89]                    // 000000006BC0: D3B14058 1802B104
	v_pk_mul_f32 v[90:91], v[4:5], v[90:91]                    // 000000006BC8: D3B1405A 1802B504
	v_cvt_pk_fp8_f32 v88, v88, v89                             // 000000006BD0: D2A20058 0002B358
	v_cvt_pk_fp8_f32 v88, v90, v91 op_sel:[0,0,1]              // 000000006BD8: D2A24058 0002B75A
	v_rcp_f32_e32 v145, v145                                   // 000000006BE0: 7F224591
	v_mov_b32_e32 v150, 0x358637bd                             // 000000006BE4: 7F2C02FF 358637BD
	v_max3_f32 v150, |v108|, |v109|, v150                      // 000000006BEC: D1D30396 065ADB6C
	v_max3_f32 v150, |v110|, |v111|, v150                      // 000000006BF4: D1D30396 065ADF6E
	v_max3_f32 v150, |v128|, |v129|, v150                      // 000000006BFC: D1D30396 065B0380
	v_max3_f32 v150, |v130|, |v131|, v150                      // 000000006C04: D1D30396 065B0782
	ds_write_b32 v154, v150                                    // 000000006C0C: D81A0000 0000969A
	s_waitcnt lgkmcnt(0)                                       // 000000006C14: BF8CC07F
	s_barrier                                                  // 000000006C18: BF8A0000
	ds_read_b32 v4, v155                                       // 000000006C1C: D86C0000 0400009B
	ds_read_b32 v5, v155 offset:64                             // 000000006C24: D86C0040 0500009B
	ds_read_b32 v6, v155 offset:128                            // 000000006C2C: D86C0080 0600009B
	ds_read_b32 v7, v155 offset:192                            // 000000006C34: D86C00C0 0700009B
	ds_read_b32 v8, v155 offset:256                            // 000000006C3C: D86C0100 0800009B
	ds_read_b32 v9, v155 offset:320                            // 000000006C44: D86C0140 0900009B
	ds_read_b32 v10, v155 offset:384                           // 000000006C4C: D86C0180 0A00009B
	ds_read_b32 v11, v155 offset:448                           // 000000006C54: D86C01C0 0B00009B
	ds_read_b32 v12, v155 offset:512                           // 000000006C5C: D86C0200 0C00009B
	ds_read_b32 v13, v155 offset:576                           // 000000006C64: D86C0240 0D00009B
	ds_read_b32 v14, v155 offset:640                           // 000000006C6C: D86C0280 0E00009B
	ds_read_b32 v15, v155 offset:704                           // 000000006C74: D86C02C0 0F00009B
	ds_read_b32 v16, v155 offset:768                           // 000000006C7C: D86C0300 1000009B
	ds_read_b32 v17, v155 offset:832                           // 000000006C84: D86C0340 1100009B
	ds_read_b32 v18, v155 offset:896                           // 000000006C8C: D86C0380 1200009B
	ds_read_b32 v19, v155 offset:960                           // 000000006C94: D86C03C0 1300009B
	s_waitcnt lgkmcnt(0)                                       // 000000006C9C: BF8CC07F
	s_barrier                                                  // 000000006CA0: BF8A0000
	v_max3_f32 v150, |v4|, |v5|, v150                          // 000000006CA4: D1D30396 065A0B04
	v_max3_f32 v150, |v6|, |v7|, v150                          // 000000006CAC: D1D30396 065A0F06
	v_max3_f32 v150, |v8|, |v9|, v150                          // 000000006CB4: D1D30396 065A1308
	v_max3_f32 v150, |v10|, |v11|, v150                        // 000000006CBC: D1D30396 065A170A
	v_max3_f32 v150, |v12|, |v13|, v150                        // 000000006CC4: D1D30396 065A1B0C
	v_max3_f32 v150, |v14|, |v15|, v150                        // 000000006CCC: D1D30396 065A1F0E
	v_max3_f32 v150, |v16|, |v17|, v150                        // 000000006CD4: D1D30396 065A2310
	v_max3_f32 v150, |v18|, |v19|, v150                        // 000000006CDC: D1D30396 065A2712
	v_rcp_f32_e32 v150, v150                                   // 000000006CE4: 7F2C4596
	v_mov_b32_e32 v4, 0x43700000                               // 000000006CE8: 7E0802FF 43700000
	v_mul_f32_e32 v150, v4, v150                               // 000000006CF0: 0B2D2D04
	v_mov_b32_e32 v4, v150                                     // 000000006CF4: 7E080396
	v_mov_b32_e32 v5, v4                                       // 000000006CF8: 7E0A0304
	v_pk_mul_f32 v[108:109], v[4:5], v[108:109]                // 000000006CFC: D3B1406C 1802D904
	v_pk_mul_f32 v[110:111], v[4:5], v[110:111]                // 000000006D04: D3B1406E 1802DD04
	v_cvt_pk_fp8_f32 v108, v108, v109                          // 000000006D0C: D2A2006C 0002DB6C
	v_cvt_pk_fp8_f32 v108, v110, v111 op_sel:[0,0,1]           // 000000006D14: D2A2406C 0002DF6E
	v_pk_mul_f32 v[128:129], v[4:5], v[128:129]                // 000000006D1C: D3B14080 18030104
	v_pk_mul_f32 v[130:131], v[4:5], v[130:131]                // 000000006D24: D3B14082 18030504
	v_cvt_pk_fp8_f32 v128, v128, v129                          // 000000006D2C: D2A20080 00030380
	v_cvt_pk_fp8_f32 v128, v130, v131 op_sel:[0,0,1]           // 000000006D34: D2A24080 00030782
	v_rcp_f32_e32 v150, v150                                   // 000000006D3C: 7F2C4596
	v_mov_b32_e32 v146, 0x358637bd                             // 000000006D40: 7F2402FF 358637BD
	v_max3_f32 v146, |v72|, |v73|, v146                        // 000000006D48: D1D30392 064A9348
	v_max3_f32 v146, |v74|, |v75|, v146                        // 000000006D50: D1D30392 064A974A
	v_max3_f32 v146, |v92|, |v93|, v146                        // 000000006D58: D1D30392 064ABB5C
	v_max3_f32 v146, |v94|, |v95|, v146                        // 000000006D60: D1D30392 064ABF5E
	ds_write_b32 v154, v146                                    // 000000006D68: D81A0000 0000929A
	s_waitcnt lgkmcnt(0)                                       // 000000006D70: BF8CC07F
	s_barrier                                                  // 000000006D74: BF8A0000
	ds_read_b32 v4, v155                                       // 000000006D78: D86C0000 0400009B
	ds_read_b32 v5, v155 offset:64                             // 000000006D80: D86C0040 0500009B
	ds_read_b32 v6, v155 offset:128                            // 000000006D88: D86C0080 0600009B
	ds_read_b32 v7, v155 offset:192                            // 000000006D90: D86C00C0 0700009B
	ds_read_b32 v8, v155 offset:256                            // 000000006D98: D86C0100 0800009B
	ds_read_b32 v9, v155 offset:320                            // 000000006DA0: D86C0140 0900009B
	ds_read_b32 v10, v155 offset:384                           // 000000006DA8: D86C0180 0A00009B
	ds_read_b32 v11, v155 offset:448                           // 000000006DB0: D86C01C0 0B00009B
	ds_read_b32 v12, v155 offset:512                           // 000000006DB8: D86C0200 0C00009B
	ds_read_b32 v13, v155 offset:576                           // 000000006DC0: D86C0240 0D00009B
	ds_read_b32 v14, v155 offset:640                           // 000000006DC8: D86C0280 0E00009B
	ds_read_b32 v15, v155 offset:704                           // 000000006DD0: D86C02C0 0F00009B
	ds_read_b32 v16, v155 offset:768                           // 000000006DD8: D86C0300 1000009B
	ds_read_b32 v17, v155 offset:832                           // 000000006DE0: D86C0340 1100009B
	ds_read_b32 v18, v155 offset:896                           // 000000006DE8: D86C0380 1200009B
	ds_read_b32 v19, v155 offset:960                           // 000000006DF0: D86C03C0 1300009B
	s_waitcnt lgkmcnt(0)                                       // 000000006DF8: BF8CC07F
	s_barrier                                                  // 000000006DFC: BF8A0000
	v_max3_f32 v146, |v4|, |v5|, v146                          // 000000006E00: D1D30392 064A0B04
	v_max3_f32 v146, |v6|, |v7|, v146                          // 000000006E08: D1D30392 064A0F06
	v_max3_f32 v146, |v8|, |v9|, v146                          // 000000006E10: D1D30392 064A1308
	v_max3_f32 v146, |v10|, |v11|, v146                        // 000000006E18: D1D30392 064A170A
	v_max3_f32 v146, |v12|, |v13|, v146                        // 000000006E20: D1D30392 064A1B0C
	v_max3_f32 v146, |v14|, |v15|, v146                        // 000000006E28: D1D30392 064A1F0E
	v_max3_f32 v146, |v16|, |v17|, v146                        // 000000006E30: D1D30392 064A2310
	v_max3_f32 v146, |v18|, |v19|, v146                        // 000000006E38: D1D30392 064A2712
	v_rcp_f32_e32 v146, v146                                   // 000000006E40: 7F244592
	v_mov_b32_e32 v4, 0x43700000                               // 000000006E44: 7E0802FF 43700000
	v_mul_f32_e32 v146, v4, v146                               // 000000006E4C: 0B252504
	v_mov_b32_e32 v4, v146                                     // 000000006E50: 7E080392
	v_mov_b32_e32 v5, v4                                       // 000000006E54: 7E0A0304
	v_pk_mul_f32 v[72:73], v[4:5], v[72:73]                    // 000000006E58: D3B14048 18029104
	v_pk_mul_f32 v[74:75], v[4:5], v[74:75]                    // 000000006E60: D3B1404A 18029504
	v_cvt_pk_fp8_f32 v72, v72, v73                             // 000000006E68: D2A20048 00029348
	v_cvt_pk_fp8_f32 v72, v74, v75 op_sel:[0,0,1]              // 000000006E70: D2A24048 0002974A
	v_pk_mul_f32 v[92:93], v[4:5], v[92:93]                    // 000000006E78: D3B1405C 1802B904
	v_pk_mul_f32 v[94:95], v[4:5], v[94:95]                    // 000000006E80: D3B1405E 1802BD04
	v_cvt_pk_fp8_f32 v92, v92, v93                             // 000000006E88: D2A2005C 0002BB5C
	v_cvt_pk_fp8_f32 v92, v94, v95 op_sel:[0,0,1]              // 000000006E90: D2A2405C 0002BF5E
	v_rcp_f32_e32 v146, v146                                   // 000000006E98: 7F244592
	v_mov_b32_e32 v151, 0x358637bd                             // 000000006E9C: 7F2E02FF 358637BD
	v_max3_f32 v151, |v112|, |v113|, v151                      // 000000006EA4: D1D30397 065EE370
	v_max3_f32 v151, |v114|, |v115|, v151                      // 000000006EAC: D1D30397 065EE772
	v_max3_f32 v151, |v132|, |v133|, v151                      // 000000006EB4: D1D30397 065F0B84
	v_max3_f32 v151, |v134|, |v135|, v151                      // 000000006EBC: D1D30397 065F0F86
	ds_write_b32 v154, v151                                    // 000000006EC4: D81A0000 0000979A
	s_waitcnt lgkmcnt(0)                                       // 000000006ECC: BF8CC07F
	s_barrier                                                  // 000000006ED0: BF8A0000
	ds_read_b32 v4, v155                                       // 000000006ED4: D86C0000 0400009B
	ds_read_b32 v5, v155 offset:64                             // 000000006EDC: D86C0040 0500009B
	ds_read_b32 v6, v155 offset:128                            // 000000006EE4: D86C0080 0600009B
	ds_read_b32 v7, v155 offset:192                            // 000000006EEC: D86C00C0 0700009B
	ds_read_b32 v8, v155 offset:256                            // 000000006EF4: D86C0100 0800009B
	ds_read_b32 v9, v155 offset:320                            // 000000006EFC: D86C0140 0900009B
	ds_read_b32 v10, v155 offset:384                           // 000000006F04: D86C0180 0A00009B
	ds_read_b32 v11, v155 offset:448                           // 000000006F0C: D86C01C0 0B00009B
	ds_read_b32 v12, v155 offset:512                           // 000000006F14: D86C0200 0C00009B
	ds_read_b32 v13, v155 offset:576                           // 000000006F1C: D86C0240 0D00009B
	ds_read_b32 v14, v155 offset:640                           // 000000006F24: D86C0280 0E00009B
	ds_read_b32 v15, v155 offset:704                           // 000000006F2C: D86C02C0 0F00009B
	ds_read_b32 v16, v155 offset:768                           // 000000006F34: D86C0300 1000009B
	ds_read_b32 v17, v155 offset:832                           // 000000006F3C: D86C0340 1100009B
	ds_read_b32 v18, v155 offset:896                           // 000000006F44: D86C0380 1200009B
	ds_read_b32 v19, v155 offset:960                           // 000000006F4C: D86C03C0 1300009B
	s_waitcnt lgkmcnt(0)                                       // 000000006F54: BF8CC07F
	s_barrier                                                  // 000000006F58: BF8A0000
	v_max3_f32 v151, |v4|, |v5|, v151                          // 000000006F5C: D1D30397 065E0B04
	v_max3_f32 v151, |v6|, |v7|, v151                          // 000000006F64: D1D30397 065E0F06
	v_max3_f32 v151, |v8|, |v9|, v151                          // 000000006F6C: D1D30397 065E1308
	v_max3_f32 v151, |v10|, |v11|, v151                        // 000000006F74: D1D30397 065E170A
	v_max3_f32 v151, |v12|, |v13|, v151                        // 000000006F7C: D1D30397 065E1B0C
	v_max3_f32 v151, |v14|, |v15|, v151                        // 000000006F84: D1D30397 065E1F0E
	v_max3_f32 v151, |v16|, |v17|, v151                        // 000000006F8C: D1D30397 065E2310
	v_max3_f32 v151, |v18|, |v19|, v151                        // 000000006F94: D1D30397 065E2712
	v_rcp_f32_e32 v151, v151                                   // 000000006F9C: 7F2E4597
	v_mov_b32_e32 v4, 0x43700000                               // 000000006FA0: 7E0802FF 43700000
	v_mul_f32_e32 v151, v4, v151                               // 000000006FA8: 0B2F2F04
	v_mov_b32_e32 v4, v151                                     // 000000006FAC: 7E080397
	v_mov_b32_e32 v5, v4                                       // 000000006FB0: 7E0A0304
	v_pk_mul_f32 v[112:113], v[4:5], v[112:113]                // 000000006FB4: D3B14070 1802E104
	v_pk_mul_f32 v[114:115], v[4:5], v[114:115]                // 000000006FBC: D3B14072 1802E504
	v_cvt_pk_fp8_f32 v112, v112, v113                          // 000000006FC4: D2A20070 0002E370
	v_cvt_pk_fp8_f32 v112, v114, v115 op_sel:[0,0,1]           // 000000006FCC: D2A24070 0002E772
	v_pk_mul_f32 v[132:133], v[4:5], v[132:133]                // 000000006FD4: D3B14084 18030904
	v_pk_mul_f32 v[134:135], v[4:5], v[134:135]                // 000000006FDC: D3B14086 18030D04
	v_cvt_pk_fp8_f32 v132, v132, v133                          // 000000006FE4: D2A20084 00030B84
	v_cvt_pk_fp8_f32 v132, v134, v135 op_sel:[0,0,1]           // 000000006FEC: D2A24084 00030F86
	v_rcp_f32_e32 v151, v151                                   // 000000006FF4: 7F2E4597
	v_mov_b32_e32 v147, 0x358637bd                             // 000000006FF8: 7F2602FF 358637BD
	v_max3_f32 v147, |v76|, |v77|, v147                        // 000000007000: D1D30393 064E9B4C
	v_max3_f32 v147, |v78|, |v79|, v147                        // 000000007008: D1D30393 064E9F4E
	v_max3_f32 v147, |v96|, |v97|, v147                        // 000000007010: D1D30393 064EC360
	v_max3_f32 v147, |v98|, |v99|, v147                        // 000000007018: D1D30393 064EC762
	ds_write_b32 v154, v147                                    // 000000007020: D81A0000 0000939A
	s_waitcnt lgkmcnt(0)                                       // 000000007028: BF8CC07F
	s_barrier                                                  // 00000000702C: BF8A0000
	ds_read_b32 v4, v155                                       // 000000007030: D86C0000 0400009B
	ds_read_b32 v5, v155 offset:64                             // 000000007038: D86C0040 0500009B
	ds_read_b32 v6, v155 offset:128                            // 000000007040: D86C0080 0600009B
	ds_read_b32 v7, v155 offset:192                            // 000000007048: D86C00C0 0700009B
	ds_read_b32 v8, v155 offset:256                            // 000000007050: D86C0100 0800009B
	ds_read_b32 v9, v155 offset:320                            // 000000007058: D86C0140 0900009B
	ds_read_b32 v10, v155 offset:384                           // 000000007060: D86C0180 0A00009B
	ds_read_b32 v11, v155 offset:448                           // 000000007068: D86C01C0 0B00009B
	ds_read_b32 v12, v155 offset:512                           // 000000007070: D86C0200 0C00009B
	ds_read_b32 v13, v155 offset:576                           // 000000007078: D86C0240 0D00009B
	ds_read_b32 v14, v155 offset:640                           // 000000007080: D86C0280 0E00009B
	ds_read_b32 v15, v155 offset:704                           // 000000007088: D86C02C0 0F00009B
	ds_read_b32 v16, v155 offset:768                           // 000000007090: D86C0300 1000009B
	ds_read_b32 v17, v155 offset:832                           // 000000007098: D86C0340 1100009B
	ds_read_b32 v18, v155 offset:896                           // 0000000070A0: D86C0380 1200009B
	ds_read_b32 v19, v155 offset:960                           // 0000000070A8: D86C03C0 1300009B
	s_waitcnt lgkmcnt(0)                                       // 0000000070B0: BF8CC07F
	s_barrier                                                  // 0000000070B4: BF8A0000
	v_max3_f32 v147, |v4|, |v5|, v147                          // 0000000070B8: D1D30393 064E0B04
	v_max3_f32 v147, |v6|, |v7|, v147                          // 0000000070C0: D1D30393 064E0F06
	v_max3_f32 v147, |v8|, |v9|, v147                          // 0000000070C8: D1D30393 064E1308
	v_max3_f32 v147, |v10|, |v11|, v147                        // 0000000070D0: D1D30393 064E170A
	v_max3_f32 v147, |v12|, |v13|, v147                        // 0000000070D8: D1D30393 064E1B0C
	v_max3_f32 v147, |v14|, |v15|, v147                        // 0000000070E0: D1D30393 064E1F0E
	v_max3_f32 v147, |v16|, |v17|, v147                        // 0000000070E8: D1D30393 064E2310
	v_max3_f32 v147, |v18|, |v19|, v147                        // 0000000070F0: D1D30393 064E2712
	v_rcp_f32_e32 v147, v147                                   // 0000000070F8: 7F264593
	v_mov_b32_e32 v4, 0x43700000                               // 0000000070FC: 7E0802FF 43700000
	v_mul_f32_e32 v147, v4, v147                               // 000000007104: 0B272704
	v_mov_b32_e32 v4, v147                                     // 000000007108: 7E080393
	v_mov_b32_e32 v5, v4                                       // 00000000710C: 7E0A0304
	v_pk_mul_f32 v[76:77], v[4:5], v[76:77]                    // 000000007110: D3B1404C 18029904
	v_pk_mul_f32 v[78:79], v[4:5], v[78:79]                    // 000000007118: D3B1404E 18029D04
	v_cvt_pk_fp8_f32 v76, v76, v77                             // 000000007120: D2A2004C 00029B4C
	v_cvt_pk_fp8_f32 v76, v78, v79 op_sel:[0,0,1]              // 000000007128: D2A2404C 00029F4E
	v_pk_mul_f32 v[96:97], v[4:5], v[96:97]                    // 000000007130: D3B14060 1802C104
	v_pk_mul_f32 v[98:99], v[4:5], v[98:99]                    // 000000007138: D3B14062 1802C504
	v_cvt_pk_fp8_f32 v96, v96, v97                             // 000000007140: D2A20060 0002C360
	v_cvt_pk_fp8_f32 v96, v98, v99 op_sel:[0,0,1]              // 000000007148: D2A24060 0002C762
	v_rcp_f32_e32 v147, v147                                   // 000000007150: 7F264593
	v_mov_b32_e32 v152, 0x358637bd                             // 000000007154: 7F3002FF 358637BD
	v_max3_f32 v152, |v116|, |v117|, v152                      // 00000000715C: D1D30398 0662EB74
	v_max3_f32 v152, |v118|, |v119|, v152                      // 000000007164: D1D30398 0662EF76
	v_max3_f32 v152, |v136|, |v137|, v152                      // 00000000716C: D1D30398 06631388
	v_max3_f32 v152, |v138|, |v139|, v152                      // 000000007174: D1D30398 0663178A
	ds_write_b32 v154, v152                                    // 00000000717C: D81A0000 0000989A
	s_waitcnt lgkmcnt(0)                                       // 000000007184: BF8CC07F
	s_barrier                                                  // 000000007188: BF8A0000
	ds_read_b32 v4, v155                                       // 00000000718C: D86C0000 0400009B
	ds_read_b32 v5, v155 offset:64                             // 000000007194: D86C0040 0500009B
	ds_read_b32 v6, v155 offset:128                            // 00000000719C: D86C0080 0600009B
	ds_read_b32 v7, v155 offset:192                            // 0000000071A4: D86C00C0 0700009B
	ds_read_b32 v8, v155 offset:256                            // 0000000071AC: D86C0100 0800009B
	ds_read_b32 v9, v155 offset:320                            // 0000000071B4: D86C0140 0900009B
	ds_read_b32 v10, v155 offset:384                           // 0000000071BC: D86C0180 0A00009B
	ds_read_b32 v11, v155 offset:448                           // 0000000071C4: D86C01C0 0B00009B
	ds_read_b32 v12, v155 offset:512                           // 0000000071CC: D86C0200 0C00009B
	ds_read_b32 v13, v155 offset:576                           // 0000000071D4: D86C0240 0D00009B
	ds_read_b32 v14, v155 offset:640                           // 0000000071DC: D86C0280 0E00009B
	ds_read_b32 v15, v155 offset:704                           // 0000000071E4: D86C02C0 0F00009B
	ds_read_b32 v16, v155 offset:768                           // 0000000071EC: D86C0300 1000009B
	ds_read_b32 v17, v155 offset:832                           // 0000000071F4: D86C0340 1100009B
	ds_read_b32 v18, v155 offset:896                           // 0000000071FC: D86C0380 1200009B
	ds_read_b32 v19, v155 offset:960                           // 000000007204: D86C03C0 1300009B
	s_waitcnt lgkmcnt(0)                                       // 00000000720C: BF8CC07F
	s_barrier                                                  // 000000007210: BF8A0000
	v_max3_f32 v152, |v4|, |v5|, v152                          // 000000007214: D1D30398 06620B04
	v_max3_f32 v152, |v6|, |v7|, v152                          // 00000000721C: D1D30398 06620F06
	v_max3_f32 v152, |v8|, |v9|, v152                          // 000000007224: D1D30398 06621308
	v_max3_f32 v152, |v10|, |v11|, v152                        // 00000000722C: D1D30398 0662170A
	v_max3_f32 v152, |v12|, |v13|, v152                        // 000000007234: D1D30398 06621B0C
	v_max3_f32 v152, |v14|, |v15|, v152                        // 00000000723C: D1D30398 06621F0E
	v_max3_f32 v152, |v16|, |v17|, v152                        // 000000007244: D1D30398 06622310
	v_max3_f32 v152, |v18|, |v19|, v152                        // 00000000724C: D1D30398 06622712
	v_rcp_f32_e32 v152, v152                                   // 000000007254: 7F304598
	v_mov_b32_e32 v4, 0x43700000                               // 000000007258: 7E0802FF 43700000
	v_mul_f32_e32 v152, v4, v152                               // 000000007260: 0B313104
	v_mov_b32_e32 v4, v152                                     // 000000007264: 7E080398
	v_mov_b32_e32 v5, v4                                       // 000000007268: 7E0A0304
	v_pk_mul_f32 v[116:117], v[4:5], v[116:117]                // 00000000726C: D3B14074 1802E904
	v_pk_mul_f32 v[118:119], v[4:5], v[118:119]                // 000000007274: D3B14076 1802ED04
	v_cvt_pk_fp8_f32 v116, v116, v117                          // 00000000727C: D2A20074 0002EB74
	v_cvt_pk_fp8_f32 v116, v118, v119 op_sel:[0,0,1]           // 000000007284: D2A24074 0002EF76
	v_pk_mul_f32 v[136:137], v[4:5], v[136:137]                // 00000000728C: D3B14088 18031104
	v_pk_mul_f32 v[138:139], v[4:5], v[138:139]                // 000000007294: D3B1408A 18031504
	v_cvt_pk_fp8_f32 v136, v136, v137                          // 00000000729C: D2A20088 00031388
	v_cvt_pk_fp8_f32 v136, v138, v139 op_sel:[0,0,1]           // 0000000072A4: D2A24088 0003178A
	v_rcp_f32_e32 v152, v152                                   // 0000000072AC: 7F304598
	v_mov_b32_e32 v148, 0x358637bd                             // 0000000072B0: 7F2802FF 358637BD
	v_max3_f32 v148, |v80|, |v81|, v148                        // 0000000072B8: D1D30394 0652A350
	v_max3_f32 v148, |v82|, |v83|, v148                        // 0000000072C0: D1D30394 0652A752
	v_max3_f32 v148, |v100|, |v101|, v148                      // 0000000072C8: D1D30394 0652CB64
	v_max3_f32 v148, |v102|, |v103|, v148                      // 0000000072D0: D1D30394 0652CF66
	ds_write_b32 v154, v148                                    // 0000000072D8: D81A0000 0000949A
	s_waitcnt lgkmcnt(0)                                       // 0000000072E0: BF8CC07F
	s_barrier                                                  // 0000000072E4: BF8A0000
	ds_read_b32 v4, v155                                       // 0000000072E8: D86C0000 0400009B
	ds_read_b32 v5, v155 offset:64                             // 0000000072F0: D86C0040 0500009B
	ds_read_b32 v6, v155 offset:128                            // 0000000072F8: D86C0080 0600009B
	ds_read_b32 v7, v155 offset:192                            // 000000007300: D86C00C0 0700009B
	ds_read_b32 v8, v155 offset:256                            // 000000007308: D86C0100 0800009B
	ds_read_b32 v9, v155 offset:320                            // 000000007310: D86C0140 0900009B
	ds_read_b32 v10, v155 offset:384                           // 000000007318: D86C0180 0A00009B
	ds_read_b32 v11, v155 offset:448                           // 000000007320: D86C01C0 0B00009B
	ds_read_b32 v12, v155 offset:512                           // 000000007328: D86C0200 0C00009B
	ds_read_b32 v13, v155 offset:576                           // 000000007330: D86C0240 0D00009B
	ds_read_b32 v14, v155 offset:640                           // 000000007338: D86C0280 0E00009B
	ds_read_b32 v15, v155 offset:704                           // 000000007340: D86C02C0 0F00009B
	ds_read_b32 v16, v155 offset:768                           // 000000007348: D86C0300 1000009B
	ds_read_b32 v17, v155 offset:832                           // 000000007350: D86C0340 1100009B
	ds_read_b32 v18, v155 offset:896                           // 000000007358: D86C0380 1200009B
	ds_read_b32 v19, v155 offset:960                           // 000000007360: D86C03C0 1300009B
	s_waitcnt lgkmcnt(0)                                       // 000000007368: BF8CC07F
	s_barrier                                                  // 00000000736C: BF8A0000
	v_max3_f32 v148, |v4|, |v5|, v148                          // 000000007370: D1D30394 06520B04
	v_max3_f32 v148, |v6|, |v7|, v148                          // 000000007378: D1D30394 06520F06
	v_max3_f32 v148, |v8|, |v9|, v148                          // 000000007380: D1D30394 06521308
	v_max3_f32 v148, |v10|, |v11|, v148                        // 000000007388: D1D30394 0652170A
	v_max3_f32 v148, |v12|, |v13|, v148                        // 000000007390: D1D30394 06521B0C
	v_max3_f32 v148, |v14|, |v15|, v148                        // 000000007398: D1D30394 06521F0E
	v_max3_f32 v148, |v16|, |v17|, v148                        // 0000000073A0: D1D30394 06522310
	v_max3_f32 v148, |v18|, |v19|, v148                        // 0000000073A8: D1D30394 06522712
	v_rcp_f32_e32 v148, v148                                   // 0000000073B0: 7F284594
	v_mov_b32_e32 v4, 0x43700000                               // 0000000073B4: 7E0802FF 43700000
	v_mul_f32_e32 v148, v4, v148                               // 0000000073BC: 0B292904
	v_mov_b32_e32 v4, v148                                     // 0000000073C0: 7E080394
	v_mov_b32_e32 v5, v4                                       // 0000000073C4: 7E0A0304
	v_pk_mul_f32 v[80:81], v[4:5], v[80:81]                    // 0000000073C8: D3B14050 1802A104
	v_pk_mul_f32 v[82:83], v[4:5], v[82:83]                    // 0000000073D0: D3B14052 1802A504
	v_cvt_pk_fp8_f32 v80, v80, v81                             // 0000000073D8: D2A20050 0002A350
	v_cvt_pk_fp8_f32 v80, v82, v83 op_sel:[0,0,1]              // 0000000073E0: D2A24050 0002A752
	v_pk_mul_f32 v[100:101], v[4:5], v[100:101]                // 0000000073E8: D3B14064 1802C904
	v_pk_mul_f32 v[102:103], v[4:5], v[102:103]                // 0000000073F0: D3B14066 1802CD04
	v_cvt_pk_fp8_f32 v100, v100, v101                          // 0000000073F8: D2A20064 0002CB64
	v_cvt_pk_fp8_f32 v100, v102, v103 op_sel:[0,0,1]           // 000000007400: D2A24064 0002CF66
	v_rcp_f32_e32 v148, v148                                   // 000000007408: 7F284594
	v_mov_b32_e32 v153, 0x358637bd                             // 00000000740C: 7F3202FF 358637BD
	v_max3_f32 v153, |v120|, |v121|, v153                      // 000000007414: D1D30399 0666F378
	v_max3_f32 v153, |v122|, |v123|, v153                      // 00000000741C: D1D30399 0666F77A
	v_max3_f32 v153, |v140|, |v141|, v153                      // 000000007424: D1D30399 06671B8C
	v_max3_f32 v153, |v142|, |v143|, v153                      // 00000000742C: D1D30399 06671F8E
	ds_write_b32 v154, v153                                    // 000000007434: D81A0000 0000999A
	s_waitcnt lgkmcnt(0)                                       // 00000000743C: BF8CC07F
	s_barrier                                                  // 000000007440: BF8A0000
	ds_read_b32 v4, v155                                       // 000000007444: D86C0000 0400009B
	ds_read_b32 v5, v155 offset:64                             // 00000000744C: D86C0040 0500009B
	ds_read_b32 v6, v155 offset:128                            // 000000007454: D86C0080 0600009B
	ds_read_b32 v7, v155 offset:192                            // 00000000745C: D86C00C0 0700009B
	ds_read_b32 v8, v155 offset:256                            // 000000007464: D86C0100 0800009B
	ds_read_b32 v9, v155 offset:320                            // 00000000746C: D86C0140 0900009B
	ds_read_b32 v10, v155 offset:384                           // 000000007474: D86C0180 0A00009B
	ds_read_b32 v11, v155 offset:448                           // 00000000747C: D86C01C0 0B00009B
	ds_read_b32 v12, v155 offset:512                           // 000000007484: D86C0200 0C00009B
	ds_read_b32 v13, v155 offset:576                           // 00000000748C: D86C0240 0D00009B
	ds_read_b32 v14, v155 offset:640                           // 000000007494: D86C0280 0E00009B
	ds_read_b32 v15, v155 offset:704                           // 00000000749C: D86C02C0 0F00009B
	ds_read_b32 v16, v155 offset:768                           // 0000000074A4: D86C0300 1000009B
	ds_read_b32 v17, v155 offset:832                           // 0000000074AC: D86C0340 1100009B
	ds_read_b32 v18, v155 offset:896                           // 0000000074B4: D86C0380 1200009B
	ds_read_b32 v19, v155 offset:960                           // 0000000074BC: D86C03C0 1300009B
	s_waitcnt lgkmcnt(0)                                       // 0000000074C4: BF8CC07F
	s_barrier                                                  // 0000000074C8: BF8A0000
	v_max3_f32 v153, |v4|, |v5|, v153                          // 0000000074CC: D1D30399 06660B04
	v_max3_f32 v153, |v6|, |v7|, v153                          // 0000000074D4: D1D30399 06660F06
	v_max3_f32 v153, |v8|, |v9|, v153                          // 0000000074DC: D1D30399 06661308
	v_max3_f32 v153, |v10|, |v11|, v153                        // 0000000074E4: D1D30399 0666170A
	v_max3_f32 v153, |v12|, |v13|, v153                        // 0000000074EC: D1D30399 06661B0C
	v_max3_f32 v153, |v14|, |v15|, v153                        // 0000000074F4: D1D30399 06661F0E
	v_max3_f32 v153, |v16|, |v17|, v153                        // 0000000074FC: D1D30399 06662310
	v_max3_f32 v153, |v18|, |v19|, v153                        // 000000007504: D1D30399 06662712
	v_rcp_f32_e32 v153, v153                                   // 00000000750C: 7F324599
	v_mov_b32_e32 v4, 0x43700000                               // 000000007510: 7E0802FF 43700000
	v_mul_f32_e32 v153, v4, v153                               // 000000007518: 0B333304
	v_mov_b32_e32 v4, v153                                     // 00000000751C: 7E080399
	v_mov_b32_e32 v5, v4                                       // 000000007520: 7E0A0304
	v_pk_mul_f32 v[120:121], v[4:5], v[120:121]                // 000000007524: D3B14078 1802F104
	v_pk_mul_f32 v[122:123], v[4:5], v[122:123]                // 00000000752C: D3B1407A 1802F504
	v_cvt_pk_fp8_f32 v120, v120, v121                          // 000000007534: D2A20078 0002F378
	v_cvt_pk_fp8_f32 v120, v122, v123 op_sel:[0,0,1]           // 00000000753C: D2A24078 0002F77A
	v_pk_mul_f32 v[140:141], v[4:5], v[140:141]                // 000000007544: D3B1408C 18031904
	v_pk_mul_f32 v[142:143], v[4:5], v[142:143]                // 00000000754C: D3B1408E 18031D04
	v_cvt_pk_fp8_f32 v140, v140, v141                          // 000000007554: D2A2008C 00031B8C
	v_cvt_pk_fp8_f32 v140, v142, v143 op_sel:[0,0,1]           // 00000000755C: D2A2408C 00031F8E
	v_rcp_f32_e32 v153, v153                                   // 000000007564: 7F324599
	v_lshrrev_b32_e32 v4, 5, v0                                // 000000007568: 20080085
	v_mul_lo_u32 v20, 34, v4                                   // 00000000756C: D2850014 000208A2
	v_and_b32_e32 v4, 31, v0                                   // 000000007574: 2608009F
	v_lshrrev_b32_e32 v5, 4, v4                                // 000000007578: 200A0884
	v_add_u32_e32 v20, v5, v20                                 // 00000000757C: 68282905
	v_and_b32_e32 v4, 15, v0                                   // 000000007580: 2608008F
	v_mul_lo_u32 v5, 2, v4                                     // 000000007584: D2850005 00020882
	v_add_u32_e32 v20, v5, v20                                 // 00000000758C: 68282905
	s_mul_i32 s60, s7, 0x44                                    // 000000007590: 923CFF07 00000044
	v_add_u32_e32 v20, s60, v20                                // 000000007598: 6828283C
	v_lshlrev_b32_e32 v20, 2, v20                              // 00000000759C: 24282882
	ds_write_b32 v20, v64                                      // 0000000075A0: D81A0000 00004014
	ds_write_b32 v20, v68 offset:4352                          // 0000000075A8: D81A1100 00004414
	ds_write_b32 v20, v72 offset:8704                          // 0000000075B0: D81A2200 00004814
	ds_write_b32 v20, v76 offset:13056                         // 0000000075B8: D81A3300 00004C14
	ds_write_b32 v20, v80 offset:17408                         // 0000000075C0: D81A4400 00005014
	ds_write_b32 v20, v84 offset:1088                          // 0000000075C8: D81A0440 00005414
	ds_write_b32 v20, v88 offset:5440                          // 0000000075D0: D81A1540 00005814
	ds_write_b32 v20, v92 offset:9792                          // 0000000075D8: D81A2640 00005C14
	ds_write_b32 v20, v96 offset:14144                         // 0000000075E0: D81A3740 00006014
	ds_write_b32 v20, v100 offset:18496                        // 0000000075E8: D81A4840 00006414
	ds_write_b32 v20, v104 offset:2176                         // 0000000075F0: D81A0880 00006814
	ds_write_b32 v20, v108 offset:6528                         // 0000000075F8: D81A1980 00006C14
	ds_write_b32 v20, v112 offset:10880                        // 000000007600: D81A2A80 00007014
	ds_write_b32 v20, v116 offset:15232                        // 000000007608: D81A3B80 00007414
	ds_write_b32 v20, v120 offset:19584                        // 000000007610: D81A4C80 00007814
	ds_write_b32 v20, v124 offset:3264                         // 000000007618: D81A0CC0 00007C14
	ds_write_b32 v20, v128 offset:7616                         // 000000007620: D81A1DC0 00008014
	ds_write_b32 v20, v132 offset:11968                        // 000000007628: D81A2EC0 00008414
	ds_write_b32 v20, v136 offset:16320                        // 000000007630: D81A3FC0 00008814
	ds_write_b32 v20, v140 offset:20672                        // 000000007638: D81A50C0 00008C14
	v_lshrrev_b32_e32 v4, 5, v0                                // 000000007640: 20080085
	v_xor_b32_e32 v5, 1, v4                                    // 000000007644: 2A0A0881
	s_mul_i32 s60, s65, 1                                      // 000000007648: 923C8141
	s_cmp_eq_u32 s88, 0                                        // 00000000764C: BF068058
	s_cselect_b32 s61, 1, 8                                    // 000000007650: 853D8881
	s_mul_i32 s60, s61, s60                                    // 000000007654: 923C3C3D
	v_readlane_b32 s82, v3, 0                                  // 000000007658: D2890052 00010103
	s_lshr_b32 s61, s82, 24                                    // 000000007660: 8F3D9852
	s_and_b32 s82, s82, 0xffffff                               // 000000007664: 8652FF52 00FFFFFF
	s_mul_i32 s82, s82, s71                                    // 00000000766C: 92524752
	s_mul_i32 s61, s60, s61                                    // 000000007670: 923D3D3C
	s_add_u32 s82, s82, s61                                    // 000000007674: 80523D52
	v_mul_lo_u32 v6, v5, s82                                   // 000000007678: D2850006 0000A505
	v_readlane_b32 s82, v3, 1                                  // 000000007680: D2890052 00010303
	s_lshr_b32 s61, s82, 24                                    // 000000007688: 8F3D9852
	s_and_b32 s82, s82, 0xffffff                               // 00000000768C: 8652FF52 00FFFFFF
	s_mul_i32 s82, s82, s71                                    // 000000007694: 92524752
	s_mul_i32 s61, s60, s61                                    // 000000007698: 923D3D3C
	s_add_u32 s82, s82, s61                                    // 00000000769C: 80523D52
	v_mul_lo_u32 v7, v4, s82                                   // 0000000076A0: D2850007 0000A504
	v_add_u32_e32 v48, v6, v7                                  // 0000000076A8: 68600F06
	v_readlane_b32 s82, v3, 2                                  // 0000000076AC: D2890052 00010503
	s_lshr_b32 s61, s82, 24                                    // 0000000076B4: 8F3D9852
	s_and_b32 s82, s82, 0xffffff                               // 0000000076B8: 8652FF52 00FFFFFF
	s_mul_i32 s82, s82, s71                                    // 0000000076C0: 92524752
	s_mul_i32 s61, s60, s61                                    // 0000000076C4: 923D3D3C
	s_add_u32 s82, s82, s61                                    // 0000000076C8: 80523D52
	v_mul_lo_u32 v6, v5, s82                                   // 0000000076CC: D2850006 0000A505
	v_readlane_b32 s82, v3, 3                                  // 0000000076D4: D2890052 00010703
	s_lshr_b32 s61, s82, 24                                    // 0000000076DC: 8F3D9852
	s_and_b32 s82, s82, 0xffffff                               // 0000000076E0: 8652FF52 00FFFFFF
	s_mul_i32 s82, s82, s71                                    // 0000000076E8: 92524752
	s_mul_i32 s61, s60, s61                                    // 0000000076EC: 923D3D3C
	s_add_u32 s82, s82, s61                                    // 0000000076F0: 80523D52
	v_mul_lo_u32 v7, v4, s82                                   // 0000000076F4: D2850007 0000A504
	v_add_u32_e32 v49, v6, v7                                  // 0000000076FC: 68620F06
	v_readlane_b32 s82, v3, 4                                  // 000000007700: D2890052 00010903
	s_lshr_b32 s61, s82, 24                                    // 000000007708: 8F3D9852
	s_and_b32 s82, s82, 0xffffff                               // 00000000770C: 8652FF52 00FFFFFF
	s_mul_i32 s82, s82, s71                                    // 000000007714: 92524752
	s_mul_i32 s61, s60, s61                                    // 000000007718: 923D3D3C
	s_add_u32 s82, s82, s61                                    // 00000000771C: 80523D52
	v_mul_lo_u32 v6, v5, s82                                   // 000000007720: D2850006 0000A505
	v_readlane_b32 s82, v3, 5                                  // 000000007728: D2890052 00010B03
	s_lshr_b32 s61, s82, 24                                    // 000000007730: 8F3D9852
	s_and_b32 s82, s82, 0xffffff                               // 000000007734: 8652FF52 00FFFFFF
	s_mul_i32 s82, s82, s71                                    // 00000000773C: 92524752
	s_mul_i32 s61, s60, s61                                    // 000000007740: 923D3D3C
	s_add_u32 s82, s82, s61                                    // 000000007744: 80523D52
	v_mul_lo_u32 v7, v4, s82                                   // 000000007748: D2850007 0000A504
	v_add_u32_e32 v50, v6, v7                                  // 000000007750: 68640F06
	v_readlane_b32 s82, v3, 6                                  // 000000007754: D2890052 00010D03
	s_lshr_b32 s61, s82, 24                                    // 00000000775C: 8F3D9852
	s_and_b32 s82, s82, 0xffffff                               // 000000007760: 8652FF52 00FFFFFF
	s_mul_i32 s82, s82, s71                                    // 000000007768: 92524752
	s_mul_i32 s61, s60, s61                                    // 00000000776C: 923D3D3C
	s_add_u32 s82, s82, s61                                    // 000000007770: 80523D52
	v_mul_lo_u32 v6, v5, s82                                   // 000000007774: D2850006 0000A505
	v_readlane_b32 s82, v3, 7                                  // 00000000777C: D2890052 00010F03
	s_lshr_b32 s61, s82, 24                                    // 000000007784: 8F3D9852
	s_and_b32 s82, s82, 0xffffff                               // 000000007788: 8652FF52 00FFFFFF
	s_mul_i32 s82, s82, s71                                    // 000000007790: 92524752
	s_mul_i32 s61, s60, s61                                    // 000000007794: 923D3D3C
	s_add_u32 s82, s82, s61                                    // 000000007798: 80523D52
	v_mul_lo_u32 v7, v4, s82                                   // 00000000779C: D2850007 0000A504
	v_add_u32_e32 v51, v6, v7                                  // 0000000077A4: 68660F06
	v_readlane_b32 s82, v3, 8                                  // 0000000077A8: D2890052 00011103
	s_lshr_b32 s61, s82, 24                                    // 0000000077B0: 8F3D9852
	s_and_b32 s82, s82, 0xffffff                               // 0000000077B4: 8652FF52 00FFFFFF
	s_mul_i32 s82, s82, s71                                    // 0000000077BC: 92524752
	s_mul_i32 s61, s60, s61                                    // 0000000077C0: 923D3D3C
	s_add_u32 s82, s82, s61                                    // 0000000077C4: 80523D52
	v_mul_lo_u32 v6, v5, s82                                   // 0000000077C8: D2850006 0000A505
	v_readlane_b32 s82, v3, 9                                  // 0000000077D0: D2890052 00011303
	s_lshr_b32 s61, s82, 24                                    // 0000000077D8: 8F3D9852
	s_and_b32 s82, s82, 0xffffff                               // 0000000077DC: 8652FF52 00FFFFFF
	s_mul_i32 s82, s82, s71                                    // 0000000077E4: 92524752
	s_mul_i32 s61, s60, s61                                    // 0000000077E8: 923D3D3C
	s_add_u32 s82, s82, s61                                    // 0000000077EC: 80523D52
	v_mul_lo_u32 v7, v4, s82                                   // 0000000077F0: D2850007 0000A504
	v_add_u32_e32 v52, v6, v7                                  // 0000000077F8: 68680F06
	v_readlane_b32 s82, v3, 10                                 // 0000000077FC: D2890052 00011503
	s_lshr_b32 s61, s82, 24                                    // 000000007804: 8F3D9852
	s_and_b32 s82, s82, 0xffffff                               // 000000007808: 8652FF52 00FFFFFF
	s_mul_i32 s82, s82, s71                                    // 000000007810: 92524752
	s_mul_i32 s61, s60, s61                                    // 000000007814: 923D3D3C
	s_add_u32 s82, s82, s61                                    // 000000007818: 80523D52
	v_mul_lo_u32 v6, v5, s82                                   // 00000000781C: D2850006 0000A505
	v_readlane_b32 s82, v3, 11                                 // 000000007824: D2890052 00011703
	s_lshr_b32 s61, s82, 24                                    // 00000000782C: 8F3D9852
	s_and_b32 s82, s82, 0xffffff                               // 000000007830: 8652FF52 00FFFFFF
	s_mul_i32 s82, s82, s71                                    // 000000007838: 92524752
	s_mul_i32 s61, s60, s61                                    // 00000000783C: 923D3D3C
	s_add_u32 s82, s82, s61                                    // 000000007840: 80523D52
	v_mul_lo_u32 v7, v4, s82                                   // 000000007844: D2850007 0000A504
	v_add_u32_e32 v53, v6, v7                                  // 00000000784C: 686A0F06
	v_readlane_b32 s82, v3, 12                                 // 000000007850: D2890052 00011903
	s_lshr_b32 s61, s82, 24                                    // 000000007858: 8F3D9852
	s_and_b32 s82, s82, 0xffffff                               // 00000000785C: 8652FF52 00FFFFFF
	s_mul_i32 s82, s82, s71                                    // 000000007864: 92524752
	s_mul_i32 s61, s60, s61                                    // 000000007868: 923D3D3C
	s_add_u32 s82, s82, s61                                    // 00000000786C: 80523D52
	v_mul_lo_u32 v6, v5, s82                                   // 000000007870: D2850006 0000A505
	v_readlane_b32 s82, v3, 13                                 // 000000007878: D2890052 00011B03
	s_lshr_b32 s61, s82, 24                                    // 000000007880: 8F3D9852
	s_and_b32 s82, s82, 0xffffff                               // 000000007884: 8652FF52 00FFFFFF
	s_mul_i32 s82, s82, s71                                    // 00000000788C: 92524752
	s_mul_i32 s61, s60, s61                                    // 000000007890: 923D3D3C
	s_add_u32 s82, s82, s61                                    // 000000007894: 80523D52
	v_mul_lo_u32 v7, v4, s82                                   // 000000007898: D2850007 0000A504
	v_add_u32_e32 v54, v6, v7                                  // 0000000078A0: 686C0F06
	v_readlane_b32 s82, v3, 14                                 // 0000000078A4: D2890052 00011D03
	s_lshr_b32 s61, s82, 24                                    // 0000000078AC: 8F3D9852
	s_and_b32 s82, s82, 0xffffff                               // 0000000078B0: 8652FF52 00FFFFFF
	s_mul_i32 s82, s82, s71                                    // 0000000078B8: 92524752
	s_mul_i32 s61, s60, s61                                    // 0000000078BC: 923D3D3C
	s_add_u32 s82, s82, s61                                    // 0000000078C0: 80523D52
	v_mul_lo_u32 v6, v5, s82                                   // 0000000078C4: D2850006 0000A505
	v_readlane_b32 s82, v3, 15                                 // 0000000078CC: D2890052 00011F03
	s_lshr_b32 s61, s82, 24                                    // 0000000078D4: 8F3D9852
	s_and_b32 s82, s82, 0xffffff                               // 0000000078D8: 8652FF52 00FFFFFF
	s_mul_i32 s82, s82, s71                                    // 0000000078E0: 92524752
	s_mul_i32 s61, s60, s61                                    // 0000000078E4: 923D3D3C
	s_add_u32 s82, s82, s61                                    // 0000000078E8: 80523D52
	v_mul_lo_u32 v7, v4, s82                                   // 0000000078EC: D2850007 0000A504
	v_add_u32_e32 v55, v6, v7                                  // 0000000078F4: 686E0F06
	v_readlane_b32 s82, v3, 16                                 // 0000000078F8: D2890052 00012103
	s_lshr_b32 s61, s82, 24                                    // 000000007900: 8F3D9852
	s_and_b32 s82, s82, 0xffffff                               // 000000007904: 8652FF52 00FFFFFF
	s_mul_i32 s82, s82, s71                                    // 00000000790C: 92524752
	s_mul_i32 s61, s60, s61                                    // 000000007910: 923D3D3C
	s_add_u32 s82, s82, s61                                    // 000000007914: 80523D52
	v_mul_lo_u32 v6, v5, s82                                   // 000000007918: D2850006 0000A505
	v_readlane_b32 s82, v3, 17                                 // 000000007920: D2890052 00012303
	s_lshr_b32 s61, s82, 24                                    // 000000007928: 8F3D9852
	s_and_b32 s82, s82, 0xffffff                               // 00000000792C: 8652FF52 00FFFFFF
	s_mul_i32 s82, s82, s71                                    // 000000007934: 92524752
	s_mul_i32 s61, s60, s61                                    // 000000007938: 923D3D3C
	s_add_u32 s82, s82, s61                                    // 00000000793C: 80523D52
	v_mul_lo_u32 v7, v4, s82                                   // 000000007940: D2850007 0000A504
	v_add_u32_e32 v56, v6, v7                                  // 000000007948: 68700F06
	v_readlane_b32 s82, v3, 18                                 // 00000000794C: D2890052 00012503
	s_lshr_b32 s61, s82, 24                                    // 000000007954: 8F3D9852
	s_and_b32 s82, s82, 0xffffff                               // 000000007958: 8652FF52 00FFFFFF
	s_mul_i32 s82, s82, s71                                    // 000000007960: 92524752
	s_mul_i32 s61, s60, s61                                    // 000000007964: 923D3D3C
	s_add_u32 s82, s82, s61                                    // 000000007968: 80523D52
	v_mul_lo_u32 v6, v5, s82                                   // 00000000796C: D2850006 0000A505
	v_readlane_b32 s82, v3, 19                                 // 000000007974: D2890052 00012703
	s_lshr_b32 s61, s82, 24                                    // 00000000797C: 8F3D9852
	s_and_b32 s82, s82, 0xffffff                               // 000000007980: 8652FF52 00FFFFFF
	s_mul_i32 s82, s82, s71                                    // 000000007988: 92524752
	s_mul_i32 s61, s60, s61                                    // 00000000798C: 923D3D3C
	s_add_u32 s82, s82, s61                                    // 000000007990: 80523D52
	v_mul_lo_u32 v7, v4, s82                                   // 000000007994: D2850007 0000A504
	v_add_u32_e32 v57, v6, v7                                  // 00000000799C: 68720F06
	v_and_b32_e32 v4, 31, v0                                   // 0000000079A0: 2608009F
	v_lshrrev_b32_e32 v4, 1, v4                                // 0000000079A4: 20080881
	s_cmp_eq_u32 s88, 0                                        // 0000000079A8: BF068058
	s_cselect_b32 s61, 2, 4                                    // 0000000079AC: 853D8482
	v_mul_lo_u32 v4, v4, s61                                   // 0000000079B0: D2850004 00007B04
	v_and_b32_e64 v5, v0, 1                                    // 0000000079B8: D1130005 00010300
	v_add_u32_e32 v4, v4, v5                                   // 0000000079C0: 68080B04
	v_lshlrev_b32_e32 v4, 2, v4                                // 0000000079C4: 24080882
	v_add_u32_e32 v48, v48, v4                                 // 0000000079C8: 68600930
	v_add_u32_e32 v49, v49, v4                                 // 0000000079CC: 68620931
	v_add_u32_e32 v50, v50, v4                                 // 0000000079D0: 68640932
	v_add_u32_e32 v51, v51, v4                                 // 0000000079D4: 68660933
	v_add_u32_e32 v52, v52, v4                                 // 0000000079D8: 68680934
	v_add_u32_e32 v53, v53, v4                                 // 0000000079DC: 686A0935
	v_add_u32_e32 v54, v54, v4                                 // 0000000079E0: 686C0936
	v_add_u32_e32 v55, v55, v4                                 // 0000000079E4: 686E0937
	v_add_u32_e32 v56, v56, v4                                 // 0000000079E8: 68700938
	v_add_u32_e32 v57, v57, v4                                 // 0000000079EC: 68720939
	s_waitcnt lgkmcnt(0)                                       // 0000000079F0: BF8CC07F
	s_barrier                                                  // 0000000079F4: BF8A0000
	ds_read_b32 v64, v21                                       // 0000000079F8: D86C0000 40000015
	ds_read_b32 v65, v21 offset:64                             // 000000007A00: D86C0040 41000015
	ds_read_b32 v66, v21 offset:2176                           // 000000007A08: D86C0880 42000015
	ds_read_b32 v67, v21 offset:2240                           // 000000007A10: D86C08C0 43000015
	ds_read_b32 v68, v21 offset:4352                           // 000000007A18: D86C1100 44000015
	ds_read_b32 v69, v21 offset:4416                           // 000000007A20: D86C1140 45000015
	ds_read_b32 v70, v21 offset:6528                           // 000000007A28: D86C1980 46000015
	ds_read_b32 v71, v21 offset:6592                           // 000000007A30: D86C19C0 47000015
	ds_read_b32 v72, v21 offset:8704                           // 000000007A38: D86C2200 48000015
	ds_read_b32 v73, v21 offset:8768                           // 000000007A40: D86C2240 49000015
	ds_read_b32 v74, v21 offset:10880                          // 000000007A48: D86C2A80 4A000015
	ds_read_b32 v75, v21 offset:10944                          // 000000007A50: D86C2AC0 4B000015
	ds_read_b32 v76, v21 offset:13056                          // 000000007A58: D86C3300 4C000015
	ds_read_b32 v77, v21 offset:13120                          // 000000007A60: D86C3340 4D000015
	ds_read_b32 v78, v21 offset:15232                          // 000000007A68: D86C3B80 4E000015
	ds_read_b32 v79, v21 offset:15296                          // 000000007A70: D86C3BC0 4F000015
	ds_read_b32 v80, v21 offset:17408                          // 000000007A78: D86C4400 50000015
	ds_read_b32 v81, v21 offset:17472                          // 000000007A80: D86C4440 51000015
	ds_read_b32 v82, v21 offset:19584                          // 000000007A88: D86C4C80 52000015
	ds_read_b32 v83, v21 offset:19648                          // 000000007A90: D86C4CC0 53000015
	s_waitcnt lgkmcnt(0)                                       // 000000007A98: BF8CC07F
	s_mov_b32 s36, -1                                          // 000000007A9C: BEA400C1
	s_mov_b32 s37, -1                                          // 000000007AA0: BEA500C1
	v_mov_b32_e32 v7, 0                                        // 000000007AA4: 7E0E0280
	s_or_b32 s9, s9, 0x40000                                   // 000000007AA8: 8709FF09 00040000
	s_mov_b64 exec, s[36:37]                                   // 000000007AB0: BEFE0124
	v_mov_b32_e32 v6, v48                                      // 000000007AB4: 7E0C0330
	s_mov_b64 s[60:61], 0                                      // 000000007AB8: BEBC0180
	v_readlane_b32 s82, v3, 0                                  // 000000007ABC: D2890052 00010103
	s_and_b32 s82, s82, 0xffffff                               // 000000007AC4: 8652FF52 00FFFFFF
	s_cmp_lt_u32 s82, s66                                      // 000000007ACC: BF0A4252
	s_cselect_b32 s20, s36, s60                                // 000000007AD0: 85143C24
	v_readlane_b32 s82, v3, 1                                  // 000000007AD4: D2890052 00010303
	s_and_b32 s82, s82, 0xffffff                               // 000000007ADC: 8652FF52 00FFFFFF
	s_cmp_lt_u32 s82, s66                                      // 000000007AE4: BF0A4252
	s_cselect_b32 s21, s36, s60                                // 000000007AE8: 85153C24
	s_mov_b64 exec, s[20:21]                                   // 000000007AEC: BEFE0114
	buffer_store_dword v64, v6, s[8:11], 0 offen               // 000000007AF0: E0701000 80024006
	buffer_store_dword v66, v6, s[8:11], 0 offen offset:128    // 000000007AF8: E0701080 80024206
	s_mov_b64 exec, s[36:37]                                   // 000000007B00: BEFE0124
	v_mov_b32_e32 v6, v49                                      // 000000007B04: 7E0C0331
	s_mov_b64 s[60:61], 0                                      // 000000007B08: BEBC0180
	v_readlane_b32 s82, v3, 2                                  // 000000007B0C: D2890052 00010503
	s_and_b32 s82, s82, 0xffffff                               // 000000007B14: 8652FF52 00FFFFFF
	s_cmp_lt_u32 s82, s66                                      // 000000007B1C: BF0A4252
	s_cselect_b32 s20, s36, s60                                // 000000007B20: 85143C24
	v_readlane_b32 s82, v3, 3                                  // 000000007B24: D2890052 00010703
	s_and_b32 s82, s82, 0xffffff                               // 000000007B2C: 8652FF52 00FFFFFF
	s_cmp_lt_u32 s82, s66                                      // 000000007B34: BF0A4252
	s_cselect_b32 s21, s36, s60                                // 000000007B38: 85153C24
	s_mov_b64 exec, s[20:21]                                   // 000000007B3C: BEFE0114
	buffer_store_dword v65, v6, s[8:11], 0 offen               // 000000007B40: E0701000 80024106
	buffer_store_dword v67, v6, s[8:11], 0 offen offset:128    // 000000007B48: E0701080 80024306
	s_mov_b64 exec, s[36:37]                                   // 000000007B50: BEFE0124
	v_mov_b32_e32 v6, v50                                      // 000000007B54: 7E0C0332
	s_mov_b64 s[60:61], 0                                      // 000000007B58: BEBC0180
	v_readlane_b32 s82, v3, 4                                  // 000000007B5C: D2890052 00010903
	s_and_b32 s82, s82, 0xffffff                               // 000000007B64: 8652FF52 00FFFFFF
	s_cmp_lt_u32 s82, s66                                      // 000000007B6C: BF0A4252
	s_cselect_b32 s20, s36, s60                                // 000000007B70: 85143C24
	v_readlane_b32 s82, v3, 5                                  // 000000007B74: D2890052 00010B03
	s_and_b32 s82, s82, 0xffffff                               // 000000007B7C: 8652FF52 00FFFFFF
	s_cmp_lt_u32 s82, s66                                      // 000000007B84: BF0A4252
	s_cselect_b32 s21, s36, s60                                // 000000007B88: 85153C24
	s_mov_b64 exec, s[20:21]                                   // 000000007B8C: BEFE0114
	buffer_store_dword v68, v6, s[8:11], 0 offen               // 000000007B90: E0701000 80024406
	buffer_store_dword v70, v6, s[8:11], 0 offen offset:128    // 000000007B98: E0701080 80024606
	s_mov_b64 exec, s[36:37]                                   // 000000007BA0: BEFE0124
	v_mov_b32_e32 v6, v51                                      // 000000007BA4: 7E0C0333
	s_mov_b64 s[60:61], 0                                      // 000000007BA8: BEBC0180
	v_readlane_b32 s82, v3, 6                                  // 000000007BAC: D2890052 00010D03
	s_and_b32 s82, s82, 0xffffff                               // 000000007BB4: 8652FF52 00FFFFFF
	s_cmp_lt_u32 s82, s66                                      // 000000007BBC: BF0A4252
	s_cselect_b32 s20, s36, s60                                // 000000007BC0: 85143C24
	v_readlane_b32 s82, v3, 7                                  // 000000007BC4: D2890052 00010F03
	s_and_b32 s82, s82, 0xffffff                               // 000000007BCC: 8652FF52 00FFFFFF
	s_cmp_lt_u32 s82, s66                                      // 000000007BD4: BF0A4252
	s_cselect_b32 s21, s36, s60                                // 000000007BD8: 85153C24
	s_mov_b64 exec, s[20:21]                                   // 000000007BDC: BEFE0114
	buffer_store_dword v69, v6, s[8:11], 0 offen               // 000000007BE0: E0701000 80024506
	buffer_store_dword v71, v6, s[8:11], 0 offen offset:128    // 000000007BE8: E0701080 80024706
	s_mov_b64 exec, s[36:37]                                   // 000000007BF0: BEFE0124
	v_mov_b32_e32 v6, v52                                      // 000000007BF4: 7E0C0334
	s_mov_b64 s[60:61], 0                                      // 000000007BF8: BEBC0180
	v_readlane_b32 s82, v3, 8                                  // 000000007BFC: D2890052 00011103
	s_and_b32 s82, s82, 0xffffff                               // 000000007C04: 8652FF52 00FFFFFF
	s_cmp_lt_u32 s82, s66                                      // 000000007C0C: BF0A4252
	s_cselect_b32 s20, s36, s60                                // 000000007C10: 85143C24
	v_readlane_b32 s82, v3, 9                                  // 000000007C14: D2890052 00011303
	s_and_b32 s82, s82, 0xffffff                               // 000000007C1C: 8652FF52 00FFFFFF
	s_cmp_lt_u32 s82, s66                                      // 000000007C24: BF0A4252
	s_cselect_b32 s21, s36, s60                                // 000000007C28: 85153C24
	s_mov_b64 exec, s[20:21]                                   // 000000007C2C: BEFE0114
	buffer_store_dword v72, v6, s[8:11], 0 offen               // 000000007C30: E0701000 80024806
	buffer_store_dword v74, v6, s[8:11], 0 offen offset:128    // 000000007C38: E0701080 80024A06
	s_mov_b64 exec, s[36:37]                                   // 000000007C40: BEFE0124
	v_mov_b32_e32 v6, v53                                      // 000000007C44: 7E0C0335
	s_mov_b64 s[60:61], 0                                      // 000000007C48: BEBC0180
	v_readlane_b32 s82, v3, 10                                 // 000000007C4C: D2890052 00011503
	s_and_b32 s82, s82, 0xffffff                               // 000000007C54: 8652FF52 00FFFFFF
	s_cmp_lt_u32 s82, s66                                      // 000000007C5C: BF0A4252
	s_cselect_b32 s20, s36, s60                                // 000000007C60: 85143C24
	v_readlane_b32 s82, v3, 11                                 // 000000007C64: D2890052 00011703
	s_and_b32 s82, s82, 0xffffff                               // 000000007C6C: 8652FF52 00FFFFFF
	s_cmp_lt_u32 s82, s66                                      // 000000007C74: BF0A4252
	s_cselect_b32 s21, s36, s60                                // 000000007C78: 85153C24
	s_mov_b64 exec, s[20:21]                                   // 000000007C7C: BEFE0114
	buffer_store_dword v73, v6, s[8:11], 0 offen               // 000000007C80: E0701000 80024906
	buffer_store_dword v75, v6, s[8:11], 0 offen offset:128    // 000000007C88: E0701080 80024B06
	s_mov_b64 exec, s[36:37]                                   // 000000007C90: BEFE0124
	v_mov_b32_e32 v6, v54                                      // 000000007C94: 7E0C0336
	s_mov_b64 s[60:61], 0                                      // 000000007C98: BEBC0180
	v_readlane_b32 s82, v3, 12                                 // 000000007C9C: D2890052 00011903
	s_and_b32 s82, s82, 0xffffff                               // 000000007CA4: 8652FF52 00FFFFFF
	s_cmp_lt_u32 s82, s66                                      // 000000007CAC: BF0A4252
	s_cselect_b32 s20, s36, s60                                // 000000007CB0: 85143C24
	v_readlane_b32 s82, v3, 13                                 // 000000007CB4: D2890052 00011B03
	s_and_b32 s82, s82, 0xffffff                               // 000000007CBC: 8652FF52 00FFFFFF
	s_cmp_lt_u32 s82, s66                                      // 000000007CC4: BF0A4252
	s_cselect_b32 s21, s36, s60                                // 000000007CC8: 85153C24
	s_mov_b64 exec, s[20:21]                                   // 000000007CCC: BEFE0114
	buffer_store_dword v76, v6, s[8:11], 0 offen               // 000000007CD0: E0701000 80024C06
	buffer_store_dword v78, v6, s[8:11], 0 offen offset:128    // 000000007CD8: E0701080 80024E06
	s_mov_b64 exec, s[36:37]                                   // 000000007CE0: BEFE0124
	v_mov_b32_e32 v6, v55                                      // 000000007CE4: 7E0C0337
	s_mov_b64 s[60:61], 0                                      // 000000007CE8: BEBC0180
	v_readlane_b32 s82, v3, 14                                 // 000000007CEC: D2890052 00011D03
	s_and_b32 s82, s82, 0xffffff                               // 000000007CF4: 8652FF52 00FFFFFF
	s_cmp_lt_u32 s82, s66                                      // 000000007CFC: BF0A4252
	s_cselect_b32 s20, s36, s60                                // 000000007D00: 85143C24
	v_readlane_b32 s82, v3, 15                                 // 000000007D04: D2890052 00011F03
	s_and_b32 s82, s82, 0xffffff                               // 000000007D0C: 8652FF52 00FFFFFF
	s_cmp_lt_u32 s82, s66                                      // 000000007D14: BF0A4252
	s_cselect_b32 s21, s36, s60                                // 000000007D18: 85153C24
	s_mov_b64 exec, s[20:21]                                   // 000000007D1C: BEFE0114
	buffer_store_dword v77, v6, s[8:11], 0 offen               // 000000007D20: E0701000 80024D06
	buffer_store_dword v79, v6, s[8:11], 0 offen offset:128    // 000000007D28: E0701080 80024F06
	s_mov_b64 exec, s[36:37]                                   // 000000007D30: BEFE0124
	v_mov_b32_e32 v6, v56                                      // 000000007D34: 7E0C0338
	s_mov_b64 s[60:61], 0                                      // 000000007D38: BEBC0180
	v_readlane_b32 s82, v3, 16                                 // 000000007D3C: D2890052 00012103
	s_and_b32 s82, s82, 0xffffff                               // 000000007D44: 8652FF52 00FFFFFF
	s_cmp_lt_u32 s82, s66                                      // 000000007D4C: BF0A4252
	s_cselect_b32 s20, s36, s60                                // 000000007D50: 85143C24
	v_readlane_b32 s82, v3, 17                                 // 000000007D54: D2890052 00012303
	s_and_b32 s82, s82, 0xffffff                               // 000000007D5C: 8652FF52 00FFFFFF
	s_cmp_lt_u32 s82, s66                                      // 000000007D64: BF0A4252
	s_cselect_b32 s21, s36, s60                                // 000000007D68: 85153C24
	s_mov_b64 exec, s[20:21]                                   // 000000007D6C: BEFE0114
	buffer_store_dword v80, v6, s[8:11], 0 offen               // 000000007D70: E0701000 80025006
	buffer_store_dword v82, v6, s[8:11], 0 offen offset:128    // 000000007D78: E0701080 80025206
	s_mov_b64 exec, s[36:37]                                   // 000000007D80: BEFE0124
	v_mov_b32_e32 v6, v57                                      // 000000007D84: 7E0C0339
	s_mov_b64 s[60:61], 0                                      // 000000007D88: BEBC0180
	v_readlane_b32 s82, v3, 18                                 // 000000007D8C: D2890052 00012503
	s_and_b32 s82, s82, 0xffffff                               // 000000007D94: 8652FF52 00FFFFFF
	s_cmp_lt_u32 s82, s66                                      // 000000007D9C: BF0A4252
	s_cselect_b32 s20, s36, s60                                // 000000007DA0: 85143C24
	v_readlane_b32 s82, v3, 19                                 // 000000007DA4: D2890052 00012703
	s_and_b32 s82, s82, 0xffffff                               // 000000007DAC: 8652FF52 00FFFFFF
	s_cmp_lt_u32 s82, s66                                      // 000000007DB4: BF0A4252
	s_cselect_b32 s21, s36, s60                                // 000000007DB8: 85153C24
	s_mov_b64 exec, s[20:21]                                   // 000000007DBC: BEFE0114
	buffer_store_dword v81, v6, s[8:11], 0 offen               // 000000007DC0: E0701000 80025106
	buffer_store_dword v83, v6, s[8:11], 0 offen offset:128    // 000000007DC8: E0701080 80025306
	s_mov_b64 exec, s[36:37]                                   // 000000007DD0: BEFE0124
	s_cmp_eq_u32 s7, 0                                         // 000000007DD4: BF068007
	s_cbranch_scc0 label_34C4                                  // 000000007DD8: BF841FCA
	s_waitcnt vmcnt(20)                                        // 000000007DDC: BF8C4F74
	s_mov_b32 s8, s90                                          // 000000007DE0: BE88005A
	s_mov_b32 s9, s91                                          // 000000007DE4: BE89005B
	s_mul_i32 s60, s66, s71                                    // 000000007DE8: 923C4742
	s_add_u32 s8, s60, s8                                      // 000000007DEC: 8008083C
	s_addc_u32 s9, 0, s9                                       // 000000007DF0: 82090980
	s_lshr_b32 s71, s71, 5                                     // 000000007DF4: 8F478547
	s_mul_i32 s60, s66, s71                                    // 000000007DF8: 923C4742
	s_mov_b32 s10, s60                                         // 000000007DFC: BE8A003C
	s_lshr_b32 s61, s65, 5                                     // 000000007E00: 8F3D8541
	s_mul_i32 s60, s2, 8                                       // 000000007E04: 923C8802
	v_lshrrev_b32_e32 v4, 24, v28                              // 000000007E08: 20083898
	v_mul_lo_u32 v4, s61, v4                                   // 000000007E0C: D2850004 0002083D
	v_and_b32_e32 v28, 0xffffff, v28                           // 000000007E14: 263838FF 00FFFFFF
	v_mul_lo_u32 v28, s71, v28                                 // 000000007E1C: D285001C 00023847
	v_add_u32_e32 v28, v4, v28                                 // 000000007E24: 68383904
	v_add_u32_e32 v28, s60, v28                                // 000000007E28: 6838383C
	v_lshrrev_b32_e32 v4, 24, v29                              // 000000007E2C: 20083A98
	v_mul_lo_u32 v4, s61, v4                                   // 000000007E30: D2850004 0002083D
	v_and_b32_e32 v29, 0xffffff, v29                           // 000000007E38: 263A3AFF 00FFFFFF
	v_mul_lo_u32 v29, s71, v29                                 // 000000007E40: D285001D 00023A47
	v_add_u32_e32 v29, v4, v29                                 // 000000007E48: 683A3B04
	v_add_u32_e32 v29, s60, v29                                // 000000007E4C: 683A3A3C
	v_lshrrev_b32_e32 v4, 24, v30                              // 000000007E50: 20083C98
	v_mul_lo_u32 v4, s61, v4                                   // 000000007E54: D2850004 0002083D
	v_and_b32_e32 v30, 0xffffff, v30                           // 000000007E5C: 263C3CFF 00FFFFFF
	v_mul_lo_u32 v30, s71, v30                                 // 000000007E64: D285001E 00023C47
	v_add_u32_e32 v30, v4, v30                                 // 000000007E6C: 683C3D04
	v_add_u32_e32 v30, s60, v30                                // 000000007E70: 683C3C3C
	v_lshrrev_b32_e32 v4, 24, v31                              // 000000007E74: 20083E98
	v_mul_lo_u32 v4, s61, v4                                   // 000000007E78: D2850004 0002083D
	v_and_b32_e32 v31, 0xffffff, v31                           // 000000007E80: 263E3EFF 00FFFFFF
	v_mul_lo_u32 v31, s71, v31                                 // 000000007E88: D285001F 00023E47
	v_add_u32_e32 v31, v4, v31                                 // 000000007E90: 683E3F04
	v_add_u32_e32 v31, s60, v31                                // 000000007E94: 683E3E3C
	v_lshrrev_b32_e32 v4, 24, v32                              // 000000007E98: 20084098
	v_mul_lo_u32 v4, s61, v4                                   // 000000007E9C: D2850004 0002083D
	v_and_b32_e32 v32, 0xffffff, v32                           // 000000007EA4: 264040FF 00FFFFFF
	v_mul_lo_u32 v32, s71, v32                                 // 000000007EAC: D2850020 00024047
	v_add_u32_e32 v32, v4, v32                                 // 000000007EB4: 68404104
	v_add_u32_e32 v32, s60, v32                                // 000000007EB8: 6840403C
	s_mov_b64 exec, 0xffff                                     // 000000007EBC: BEFE01FF 0000FFFF
	buffer_store_dword v144, v28, s[8:11], 0 offen             // 000000007EC4: E0701000 8002901C
	buffer_store_dword v149, v28, s[8:11], 0 offen offset:4    // 000000007ECC: E0701004 8002951C
	buffer_store_dword v145, v29, s[8:11], 0 offen             // 000000007ED4: E0701000 8002911D
	buffer_store_dword v150, v29, s[8:11], 0 offen offset:4    // 000000007EDC: E0701004 8002961D
	buffer_store_dword v146, v30, s[8:11], 0 offen             // 000000007EE4: E0701000 8002921E
	buffer_store_dword v151, v30, s[8:11], 0 offen offset:4    // 000000007EEC: E0701004 8002971E
	buffer_store_dword v147, v31, s[8:11], 0 offen             // 000000007EF4: E0701000 8002931F
	buffer_store_dword v152, v31, s[8:11], 0 offen offset:4    // 000000007EFC: E0701004 8002981F
	buffer_store_dword v148, v32, s[8:11], 0 offen             // 000000007F04: E0701000 80029420
	buffer_store_dword v153, v32, s[8:11], 0 offen offset:4    // 000000007F0C: E0701004 80029920
	s_mov_b64 exec, s[36:37]                                   // 000000007F14: BEFE0124
	s_branch label_34C4                                        // 000000007F18: BF821F7A

0000000000007f1c <label_1547>:
	ds_write_b64 v20, v[64:65]                                 // 000000007F1C: D89A0000 00004014
	ds_write_b64 v20, v[68:69] offset:8704                     // 000000007F24: D89A2200 00004414
	ds_write_b64 v20, v[72:73] offset:17408                    // 000000007F2C: D89A4400 00004814
	ds_write_b64 v20, v[76:77] offset:26112                    // 000000007F34: D89A6600 00004C14
	ds_write_b64 v20, v[80:81] offset:34816                    // 000000007F3C: D89A8800 00005014
	ds_write_b64 v20, v[84:85] offset:2176                     // 000000007F44: D89A0880 00005414
	ds_write_b64 v20, v[88:89] offset:10880                    // 000000007F4C: D89A2A80 00005814
	ds_write_b64 v20, v[92:93] offset:19584                    // 000000007F54: D89A4C80 00005C14
	ds_write_b64 v20, v[96:97] offset:28288                    // 000000007F5C: D89A6E80 00006014
	ds_write_b64 v20, v[100:101] offset:36992                  // 000000007F64: D89A9080 00006414
	ds_write_b64 v20, v[104:105] offset:4352                   // 000000007F6C: D89A1100 00006814
	ds_write_b64 v20, v[108:109] offset:13056                  // 000000007F74: D89A3300 00006C14
	ds_write_b64 v20, v[112:113] offset:21760                  // 000000007F7C: D89A5500 00007014
	ds_write_b64 v20, v[116:117] offset:30464                  // 000000007F84: D89A7700 00007414
	ds_write_b64 v20, v[120:121] offset:39168                  // 000000007F8C: D89A9900 00007814
	ds_write_b64 v20, v[124:125] offset:6528                   // 000000007F94: D89A1980 00007C14
	ds_write_b64 v20, v[128:129] offset:15232                  // 000000007F9C: D89A3B80 00008014
	ds_write_b64 v20, v[132:133] offset:23936                  // 000000007FA4: D89A5D80 00008414
	ds_write_b64 v20, v[136:137] offset:32640                  // 000000007FAC: D89A7F80 00008814
	ds_write_b64 v20, v[140:141] offset:41344                  // 000000007FB4: D89AA180 00008C14
	v_lshrrev_b32_e32 v4, 5, v0                                // 000000007FBC: 20080085
	v_xor_b32_e32 v5, 1, v4                                    // 000000007FC0: 2A0A0881
	s_mul_i32 s60, s65, 1                                      // 000000007FC4: 923C8141
	s_cmp_eq_u32 s88, 0                                        // 000000007FC8: BF068058
	s_cselect_b32 s61, 1, 8                                    // 000000007FCC: 853D8881
	s_mul_i32 s60, s61, s60                                    // 000000007FD0: 923C3C3D
	v_readlane_b32 s82, v3, 0                                  // 000000007FD4: D2890052 00010103
	s_lshr_b32 s61, s82, 24                                    // 000000007FDC: 8F3D9852
	s_and_b32 s82, s82, 0xffffff                               // 000000007FE0: 8652FF52 00FFFFFF
	s_mul_i32 s82, s82, s71                                    // 000000007FE8: 92524752
	s_mul_i32 s61, s60, s61                                    // 000000007FEC: 923D3D3C
	s_add_u32 s82, s82, s61                                    // 000000007FF0: 80523D52
	v_mul_lo_u32 v6, v5, s82                                   // 000000007FF4: D2850006 0000A505
	v_readlane_b32 s82, v3, 1                                  // 000000007FFC: D2890052 00010303
	s_lshr_b32 s61, s82, 24                                    // 000000008004: 8F3D9852
	s_and_b32 s82, s82, 0xffffff                               // 000000008008: 8652FF52 00FFFFFF
	s_mul_i32 s82, s82, s71                                    // 000000008010: 92524752
	s_mul_i32 s61, s60, s61                                    // 000000008014: 923D3D3C
	s_add_u32 s82, s82, s61                                    // 000000008018: 80523D52
	v_mul_lo_u32 v7, v4, s82                                   // 00000000801C: D2850007 0000A504
	v_add_u32_e32 v48, v6, v7                                  // 000000008024: 68600F06
	v_readlane_b32 s82, v3, 2                                  // 000000008028: D2890052 00010503
	s_lshr_b32 s61, s82, 24                                    // 000000008030: 8F3D9852
	s_and_b32 s82, s82, 0xffffff                               // 000000008034: 8652FF52 00FFFFFF
	s_mul_i32 s82, s82, s71                                    // 00000000803C: 92524752
	s_mul_i32 s61, s60, s61                                    // 000000008040: 923D3D3C
	s_add_u32 s82, s82, s61                                    // 000000008044: 80523D52
	v_mul_lo_u32 v6, v5, s82                                   // 000000008048: D2850006 0000A505
	v_readlane_b32 s82, v3, 3                                  // 000000008050: D2890052 00010703
	s_lshr_b32 s61, s82, 24                                    // 000000008058: 8F3D9852
	s_and_b32 s82, s82, 0xffffff                               // 00000000805C: 8652FF52 00FFFFFF
	s_mul_i32 s82, s82, s71                                    // 000000008064: 92524752
	s_mul_i32 s61, s60, s61                                    // 000000008068: 923D3D3C
	s_add_u32 s82, s82, s61                                    // 00000000806C: 80523D52
	v_mul_lo_u32 v7, v4, s82                                   // 000000008070: D2850007 0000A504
	v_add_u32_e32 v49, v6, v7                                  // 000000008078: 68620F06
	v_readlane_b32 s82, v3, 4                                  // 00000000807C: D2890052 00010903
	s_lshr_b32 s61, s82, 24                                    // 000000008084: 8F3D9852
	s_and_b32 s82, s82, 0xffffff                               // 000000008088: 8652FF52 00FFFFFF
	s_mul_i32 s82, s82, s71                                    // 000000008090: 92524752
	s_mul_i32 s61, s60, s61                                    // 000000008094: 923D3D3C
	s_add_u32 s82, s82, s61                                    // 000000008098: 80523D52
	v_mul_lo_u32 v6, v5, s82                                   // 00000000809C: D2850006 0000A505
	v_readlane_b32 s82, v3, 5                                  // 0000000080A4: D2890052 00010B03
	s_lshr_b32 s61, s82, 24                                    // 0000000080AC: 8F3D9852
	s_and_b32 s82, s82, 0xffffff                               // 0000000080B0: 8652FF52 00FFFFFF
	s_mul_i32 s82, s82, s71                                    // 0000000080B8: 92524752
	s_mul_i32 s61, s60, s61                                    // 0000000080BC: 923D3D3C
	s_add_u32 s82, s82, s61                                    // 0000000080C0: 80523D52
	v_mul_lo_u32 v7, v4, s82                                   // 0000000080C4: D2850007 0000A504
	v_add_u32_e32 v50, v6, v7                                  // 0000000080CC: 68640F06
	v_readlane_b32 s82, v3, 6                                  // 0000000080D0: D2890052 00010D03
	s_lshr_b32 s61, s82, 24                                    // 0000000080D8: 8F3D9852
	s_and_b32 s82, s82, 0xffffff                               // 0000000080DC: 8652FF52 00FFFFFF
	s_mul_i32 s82, s82, s71                                    // 0000000080E4: 92524752
	s_mul_i32 s61, s60, s61                                    // 0000000080E8: 923D3D3C
	s_add_u32 s82, s82, s61                                    // 0000000080EC: 80523D52
	v_mul_lo_u32 v6, v5, s82                                   // 0000000080F0: D2850006 0000A505
	v_readlane_b32 s82, v3, 7                                  // 0000000080F8: D2890052 00010F03
	s_lshr_b32 s61, s82, 24                                    // 000000008100: 8F3D9852
	s_and_b32 s82, s82, 0xffffff                               // 000000008104: 8652FF52 00FFFFFF
	s_mul_i32 s82, s82, s71                                    // 00000000810C: 92524752
	s_mul_i32 s61, s60, s61                                    // 000000008110: 923D3D3C
	s_add_u32 s82, s82, s61                                    // 000000008114: 80523D52
	v_mul_lo_u32 v7, v4, s82                                   // 000000008118: D2850007 0000A504
	v_add_u32_e32 v51, v6, v7                                  // 000000008120: 68660F06
	v_readlane_b32 s82, v3, 8                                  // 000000008124: D2890052 00011103
	s_lshr_b32 s61, s82, 24                                    // 00000000812C: 8F3D9852
	s_and_b32 s82, s82, 0xffffff                               // 000000008130: 8652FF52 00FFFFFF
	s_mul_i32 s82, s82, s71                                    // 000000008138: 92524752
	s_mul_i32 s61, s60, s61                                    // 00000000813C: 923D3D3C
	s_add_u32 s82, s82, s61                                    // 000000008140: 80523D52
	v_mul_lo_u32 v6, v5, s82                                   // 000000008144: D2850006 0000A505
	v_readlane_b32 s82, v3, 9                                  // 00000000814C: D2890052 00011303
	s_lshr_b32 s61, s82, 24                                    // 000000008154: 8F3D9852
	s_and_b32 s82, s82, 0xffffff                               // 000000008158: 8652FF52 00FFFFFF
	s_mul_i32 s82, s82, s71                                    // 000000008160: 92524752
	s_mul_i32 s61, s60, s61                                    // 000000008164: 923D3D3C
	s_add_u32 s82, s82, s61                                    // 000000008168: 80523D52
	v_mul_lo_u32 v7, v4, s82                                   // 00000000816C: D2850007 0000A504
	v_add_u32_e32 v52, v6, v7                                  // 000000008174: 68680F06
	v_readlane_b32 s82, v3, 10                                 // 000000008178: D2890052 00011503
	s_lshr_b32 s61, s82, 24                                    // 000000008180: 8F3D9852
	s_and_b32 s82, s82, 0xffffff                               // 000000008184: 8652FF52 00FFFFFF
	s_mul_i32 s82, s82, s71                                    // 00000000818C: 92524752
	s_mul_i32 s61, s60, s61                                    // 000000008190: 923D3D3C
	s_add_u32 s82, s82, s61                                    // 000000008194: 80523D52
	v_mul_lo_u32 v6, v5, s82                                   // 000000008198: D2850006 0000A505
	v_readlane_b32 s82, v3, 11                                 // 0000000081A0: D2890052 00011703
	s_lshr_b32 s61, s82, 24                                    // 0000000081A8: 8F3D9852
	s_and_b32 s82, s82, 0xffffff                               // 0000000081AC: 8652FF52 00FFFFFF
	s_mul_i32 s82, s82, s71                                    // 0000000081B4: 92524752
	s_mul_i32 s61, s60, s61                                    // 0000000081B8: 923D3D3C
	s_add_u32 s82, s82, s61                                    // 0000000081BC: 80523D52
	v_mul_lo_u32 v7, v4, s82                                   // 0000000081C0: D2850007 0000A504
	v_add_u32_e32 v53, v6, v7                                  // 0000000081C8: 686A0F06
	v_readlane_b32 s82, v3, 12                                 // 0000000081CC: D2890052 00011903
	s_lshr_b32 s61, s82, 24                                    // 0000000081D4: 8F3D9852
	s_and_b32 s82, s82, 0xffffff                               // 0000000081D8: 8652FF52 00FFFFFF
	s_mul_i32 s82, s82, s71                                    // 0000000081E0: 92524752
	s_mul_i32 s61, s60, s61                                    // 0000000081E4: 923D3D3C
	s_add_u32 s82, s82, s61                                    // 0000000081E8: 80523D52
	v_mul_lo_u32 v6, v5, s82                                   // 0000000081EC: D2850006 0000A505
	v_readlane_b32 s82, v3, 13                                 // 0000000081F4: D2890052 00011B03
	s_lshr_b32 s61, s82, 24                                    // 0000000081FC: 8F3D9852
	s_and_b32 s82, s82, 0xffffff                               // 000000008200: 8652FF52 00FFFFFF
	s_mul_i32 s82, s82, s71                                    // 000000008208: 92524752
	s_mul_i32 s61, s60, s61                                    // 00000000820C: 923D3D3C
	s_add_u32 s82, s82, s61                                    // 000000008210: 80523D52
	v_mul_lo_u32 v7, v4, s82                                   // 000000008214: D2850007 0000A504
	v_add_u32_e32 v54, v6, v7                                  // 00000000821C: 686C0F06
	v_readlane_b32 s82, v3, 14                                 // 000000008220: D2890052 00011D03
	s_lshr_b32 s61, s82, 24                                    // 000000008228: 8F3D9852
	s_and_b32 s82, s82, 0xffffff                               // 00000000822C: 8652FF52 00FFFFFF
	s_mul_i32 s82, s82, s71                                    // 000000008234: 92524752
	s_mul_i32 s61, s60, s61                                    // 000000008238: 923D3D3C
	s_add_u32 s82, s82, s61                                    // 00000000823C: 80523D52
	v_mul_lo_u32 v6, v5, s82                                   // 000000008240: D2850006 0000A505
	v_readlane_b32 s82, v3, 15                                 // 000000008248: D2890052 00011F03
	s_lshr_b32 s61, s82, 24                                    // 000000008250: 8F3D9852
	s_and_b32 s82, s82, 0xffffff                               // 000000008254: 8652FF52 00FFFFFF
	s_mul_i32 s82, s82, s71                                    // 00000000825C: 92524752
	s_mul_i32 s61, s60, s61                                    // 000000008260: 923D3D3C
	s_add_u32 s82, s82, s61                                    // 000000008264: 80523D52
	v_mul_lo_u32 v7, v4, s82                                   // 000000008268: D2850007 0000A504
	v_add_u32_e32 v55, v6, v7                                  // 000000008270: 686E0F06
	v_readlane_b32 s82, v3, 16                                 // 000000008274: D2890052 00012103
	s_lshr_b32 s61, s82, 24                                    // 00000000827C: 8F3D9852
	s_and_b32 s82, s82, 0xffffff                               // 000000008280: 8652FF52 00FFFFFF
	s_mul_i32 s82, s82, s71                                    // 000000008288: 92524752
	s_mul_i32 s61, s60, s61                                    // 00000000828C: 923D3D3C
	s_add_u32 s82, s82, s61                                    // 000000008290: 80523D52
	v_mul_lo_u32 v6, v5, s82                                   // 000000008294: D2850006 0000A505
	v_readlane_b32 s82, v3, 17                                 // 00000000829C: D2890052 00012303
	s_lshr_b32 s61, s82, 24                                    // 0000000082A4: 8F3D9852
	s_and_b32 s82, s82, 0xffffff                               // 0000000082A8: 8652FF52 00FFFFFF
	s_mul_i32 s82, s82, s71                                    // 0000000082B0: 92524752
	s_mul_i32 s61, s60, s61                                    // 0000000082B4: 923D3D3C
	s_add_u32 s82, s82, s61                                    // 0000000082B8: 80523D52
	v_mul_lo_u32 v7, v4, s82                                   // 0000000082BC: D2850007 0000A504
	v_add_u32_e32 v56, v6, v7                                  // 0000000082C4: 68700F06
	v_readlane_b32 s82, v3, 18                                 // 0000000082C8: D2890052 00012503
	s_lshr_b32 s61, s82, 24                                    // 0000000082D0: 8F3D9852
	s_and_b32 s82, s82, 0xffffff                               // 0000000082D4: 8652FF52 00FFFFFF
	s_mul_i32 s82, s82, s71                                    // 0000000082DC: 92524752
	s_mul_i32 s61, s60, s61                                    // 0000000082E0: 923D3D3C
	s_add_u32 s82, s82, s61                                    // 0000000082E4: 80523D52
	v_mul_lo_u32 v6, v5, s82                                   // 0000000082E8: D2850006 0000A505
	v_readlane_b32 s82, v3, 19                                 // 0000000082F0: D2890052 00012703
	s_lshr_b32 s61, s82, 24                                    // 0000000082F8: 8F3D9852
	s_and_b32 s82, s82, 0xffffff                               // 0000000082FC: 8652FF52 00FFFFFF
	s_mul_i32 s82, s82, s71                                    // 000000008304: 92524752
	s_mul_i32 s61, s60, s61                                    // 000000008308: 923D3D3C
	s_add_u32 s82, s82, s61                                    // 00000000830C: 80523D52
	v_mul_lo_u32 v7, v4, s82                                   // 000000008310: D2850007 0000A504
	v_add_u32_e32 v57, v6, v7                                  // 000000008318: 68720F06
	v_and_b32_e32 v4, 31, v0                                   // 00000000831C: 2608009F
	v_lshrrev_b32_e32 v4, 1, v4                                // 000000008320: 20080881
	s_cmp_eq_u32 s88, 0                                        // 000000008324: BF068058
	s_cselect_b32 s61, 2, 4                                    // 000000008328: 853D8482
	v_mul_lo_u32 v4, v4, s61                                   // 00000000832C: D2850004 00007B04
	v_and_b32_e64 v5, v0, 1                                    // 000000008334: D1130005 00010300
	v_add_u32_e32 v4, v4, v5                                   // 00000000833C: 68080B04
	v_lshlrev_b32_e32 v4, 2, v4                                // 000000008340: 24080882
	v_add_u32_e32 v48, v48, v4                                 // 000000008344: 68600930
	v_add_u32_e32 v49, v49, v4                                 // 000000008348: 68620931
	v_add_u32_e32 v50, v50, v4                                 // 00000000834C: 68640932
	v_add_u32_e32 v51, v51, v4                                 // 000000008350: 68660933
	v_add_u32_e32 v52, v52, v4                                 // 000000008354: 68680934
	v_add_u32_e32 v53, v53, v4                                 // 000000008358: 686A0935
	v_add_u32_e32 v54, v54, v4                                 // 00000000835C: 686C0936
	v_add_u32_e32 v55, v55, v4                                 // 000000008360: 686E0937
	v_add_u32_e32 v56, v56, v4                                 // 000000008364: 68700938
	v_add_u32_e32 v57, v57, v4                                 // 000000008368: 68720939
	s_waitcnt lgkmcnt(0)                                       // 00000000836C: BF8CC07F
	s_barrier                                                  // 000000008370: BF8A0000
	ds_read_b32 v64, v21                                       // 000000008374: D86C0000 40000015
	ds_read_b32 v65, v21 offset:64                             // 00000000837C: D86C0040 41000015
	ds_read_b32 v68, v21 offset:2176                           // 000000008384: D86C0880 44000015
	ds_read_b32 v69, v21 offset:2240                           // 00000000838C: D86C08C0 45000015
	ds_read_b32 v72, v21 offset:4352                           // 000000008394: D86C1100 48000015
	ds_read_b32 v73, v21 offset:4416                           // 00000000839C: D86C1140 49000015
	ds_read_b32 v76, v21 offset:6528                           // 0000000083A4: D86C1980 4C000015
	ds_read_b32 v77, v21 offset:6592                           // 0000000083AC: D86C19C0 4D000015
	ds_read_b32 v80, v21 offset:8704                           // 0000000083B4: D86C2200 50000015
	ds_read_b32 v81, v21 offset:8768                           // 0000000083BC: D86C2240 51000015
	ds_read_b32 v84, v21 offset:10880                          // 0000000083C4: D86C2A80 54000015
	ds_read_b32 v85, v21 offset:10944                          // 0000000083CC: D86C2AC0 55000015
	ds_read_b32 v88, v21 offset:13056                          // 0000000083D4: D86C3300 58000015
	ds_read_b32 v89, v21 offset:13120                          // 0000000083DC: D86C3340 59000015
	ds_read_b32 v92, v21 offset:15232                          // 0000000083E4: D86C3B80 5C000015
	ds_read_b32 v93, v21 offset:15296                          // 0000000083EC: D86C3BC0 5D000015
	ds_read_b32 v96, v21 offset:17408                          // 0000000083F4: D86C4400 60000015
	ds_read_b32 v97, v21 offset:17472                          // 0000000083FC: D86C4440 61000015
	ds_read_b32 v100, v21 offset:19584                         // 000000008404: D86C4C80 64000015
	ds_read_b32 v101, v21 offset:19648                         // 00000000840C: D86C4CC0 65000015
	ds_read_b32 v104, v21 offset:21760                         // 000000008414: D86C5500 68000015
	ds_read_b32 v105, v21 offset:21824                         // 00000000841C: D86C5540 69000015
	ds_read_b32 v108, v21 offset:23936                         // 000000008424: D86C5D80 6C000015
	ds_read_b32 v109, v21 offset:24000                         // 00000000842C: D86C5DC0 6D000015
	ds_read_b32 v112, v21 offset:26112                         // 000000008434: D86C6600 70000015
	ds_read_b32 v113, v21 offset:26176                         // 00000000843C: D86C6640 71000015
	ds_read_b32 v116, v21 offset:28288                         // 000000008444: D86C6E80 74000015
	ds_read_b32 v117, v21 offset:28352                         // 00000000844C: D86C6EC0 75000015
	ds_read_b32 v120, v21 offset:30464                         // 000000008454: D86C7700 78000015
	ds_read_b32 v121, v21 offset:30528                         // 00000000845C: D86C7740 79000015
	ds_read_b32 v124, v21 offset:32640                         // 000000008464: D86C7F80 7C000015
	ds_read_b32 v125, v21 offset:32704                         // 00000000846C: D86C7FC0 7D000015
	ds_read_b32 v128, v21 offset:34816                         // 000000008474: D86C8800 80000015
	ds_read_b32 v129, v21 offset:34880                         // 00000000847C: D86C8840 81000015
	ds_read_b32 v132, v21 offset:36992                         // 000000008484: D86C9080 84000015
	ds_read_b32 v133, v21 offset:37056                         // 00000000848C: D86C90C0 85000015
	ds_read_b32 v136, v21 offset:39168                         // 000000008494: D86C9900 88000015
	ds_read_b32 v137, v21 offset:39232                         // 00000000849C: D86C9940 89000015
	ds_read_b32 v140, v21 offset:41344                         // 0000000084A4: D86CA180 8C000015
	ds_read_b32 v141, v21 offset:41408                         // 0000000084AC: D86CA1C0 8D000015
	s_waitcnt lgkmcnt(0)                                       // 0000000084B4: BF8CC07F
	s_mov_b32 s36, -1                                          // 0000000084B8: BEA400C1
	s_mov_b32 s37, -1                                          // 0000000084BC: BEA500C1
	v_mov_b32_e32 v7, 0                                        // 0000000084C0: 7E0E0280
	s_mov_b64 exec, s[36:37]                                   // 0000000084C4: BEFE0124
	v_mov_b32_e32 v6, v48                                      // 0000000084C8: 7E0C0330
	s_mov_b64 s[60:61], 0                                      // 0000000084CC: BEBC0180
	v_readlane_b32 s82, v3, 0                                  // 0000000084D0: D2890052 00010103
	s_and_b32 s82, s82, 0xffffff                               // 0000000084D8: 8652FF52 00FFFFFF
	s_cmp_lt_u32 s82, s66                                      // 0000000084E0: BF0A4252
	s_cselect_b32 s20, s36, s60                                // 0000000084E4: 85143C24
	v_readlane_b32 s82, v3, 1                                  // 0000000084E8: D2890052 00010303
	s_and_b32 s82, s82, 0xffffff                               // 0000000084F0: 8652FF52 00FFFFFF
	s_cmp_lt_u32 s82, s66                                      // 0000000084F8: BF0A4252
	s_cselect_b32 s21, s36, s60                                // 0000000084FC: 85153C24
	s_mov_b64 exec, s[20:21]                                   // 000000008500: BEFE0114
	global_atomic_add_f32 v6, v64, s[8:9]                      // 000000008504: DD348000 00084006
	global_atomic_add_f32 v6, v68, s[8:9] offset:256           // 00000000850C: DD348100 00084406
	global_atomic_add_f32 v6, v72, s[8:9] offset:512           // 000000008514: DD348200 00084806
	global_atomic_add_f32 v6, v76, s[8:9] offset:768           // 00000000851C: DD348300 00084C06
	s_mov_b64 exec, s[36:37]                                   // 000000008524: BEFE0124
	v_mov_b32_e32 v6, v49                                      // 000000008528: 7E0C0331
	s_mov_b64 s[60:61], 0                                      // 00000000852C: BEBC0180
	v_readlane_b32 s82, v3, 2                                  // 000000008530: D2890052 00010503
	s_and_b32 s82, s82, 0xffffff                               // 000000008538: 8652FF52 00FFFFFF
	s_cmp_lt_u32 s82, s66                                      // 000000008540: BF0A4252
	s_cselect_b32 s20, s36, s60                                // 000000008544: 85143C24
	v_readlane_b32 s82, v3, 3                                  // 000000008548: D2890052 00010703
	s_and_b32 s82, s82, 0xffffff                               // 000000008550: 8652FF52 00FFFFFF
	s_cmp_lt_u32 s82, s66                                      // 000000008558: BF0A4252
	s_cselect_b32 s21, s36, s60                                // 00000000855C: 85153C24
	s_mov_b64 exec, s[20:21]                                   // 000000008560: BEFE0114
	global_atomic_add_f32 v6, v65, s[8:9]                      // 000000008564: DD348000 00084106
	global_atomic_add_f32 v6, v69, s[8:9] offset:256           // 00000000856C: DD348100 00084506
	global_atomic_add_f32 v6, v73, s[8:9] offset:512           // 000000008574: DD348200 00084906
	global_atomic_add_f32 v6, v77, s[8:9] offset:768           // 00000000857C: DD348300 00084D06
	s_mov_b64 exec, s[36:37]                                   // 000000008584: BEFE0124
	v_mov_b32_e32 v6, v50                                      // 000000008588: 7E0C0332
	s_mov_b64 s[60:61], 0                                      // 00000000858C: BEBC0180
	v_readlane_b32 s82, v3, 4                                  // 000000008590: D2890052 00010903
	s_and_b32 s82, s82, 0xffffff                               // 000000008598: 8652FF52 00FFFFFF
	s_cmp_lt_u32 s82, s66                                      // 0000000085A0: BF0A4252
	s_cselect_b32 s20, s36, s60                                // 0000000085A4: 85143C24
	v_readlane_b32 s82, v3, 5                                  // 0000000085A8: D2890052 00010B03
	s_and_b32 s82, s82, 0xffffff                               // 0000000085B0: 8652FF52 00FFFFFF
	s_cmp_lt_u32 s82, s66                                      // 0000000085B8: BF0A4252
	s_cselect_b32 s21, s36, s60                                // 0000000085BC: 85153C24
	s_mov_b64 exec, s[20:21]                                   // 0000000085C0: BEFE0114
	global_atomic_add_f32 v6, v80, s[8:9]                      // 0000000085C4: DD348000 00085006
	global_atomic_add_f32 v6, v84, s[8:9] offset:256           // 0000000085CC: DD348100 00085406
	global_atomic_add_f32 v6, v88, s[8:9] offset:512           // 0000000085D4: DD348200 00085806
	global_atomic_add_f32 v6, v92, s[8:9] offset:768           // 0000000085DC: DD348300 00085C06
	s_mov_b64 exec, s[36:37]                                   // 0000000085E4: BEFE0124
	v_mov_b32_e32 v6, v51                                      // 0000000085E8: 7E0C0333
	s_mov_b64 s[60:61], 0                                      // 0000000085EC: BEBC0180
	v_readlane_b32 s82, v3, 6                                  // 0000000085F0: D2890052 00010D03
	s_and_b32 s82, s82, 0xffffff                               // 0000000085F8: 8652FF52 00FFFFFF
	s_cmp_lt_u32 s82, s66                                      // 000000008600: BF0A4252
	s_cselect_b32 s20, s36, s60                                // 000000008604: 85143C24
	v_readlane_b32 s82, v3, 7                                  // 000000008608: D2890052 00010F03
	s_and_b32 s82, s82, 0xffffff                               // 000000008610: 8652FF52 00FFFFFF
	s_cmp_lt_u32 s82, s66                                      // 000000008618: BF0A4252
	s_cselect_b32 s21, s36, s60                                // 00000000861C: 85153C24
	s_mov_b64 exec, s[20:21]                                   // 000000008620: BEFE0114
	global_atomic_add_f32 v6, v81, s[8:9]                      // 000000008624: DD348000 00085106
	global_atomic_add_f32 v6, v85, s[8:9] offset:256           // 00000000862C: DD348100 00085506
	global_atomic_add_f32 v6, v89, s[8:9] offset:512           // 000000008634: DD348200 00085906
	global_atomic_add_f32 v6, v93, s[8:9] offset:768           // 00000000863C: DD348300 00085D06
	s_mov_b64 exec, s[36:37]                                   // 000000008644: BEFE0124
	v_mov_b32_e32 v6, v52                                      // 000000008648: 7E0C0334
	s_mov_b64 s[60:61], 0                                      // 00000000864C: BEBC0180
	v_readlane_b32 s82, v3, 8                                  // 000000008650: D2890052 00011103
	s_and_b32 s82, s82, 0xffffff                               // 000000008658: 8652FF52 00FFFFFF
	s_cmp_lt_u32 s82, s66                                      // 000000008660: BF0A4252
	s_cselect_b32 s20, s36, s60                                // 000000008664: 85143C24
	v_readlane_b32 s82, v3, 9                                  // 000000008668: D2890052 00011303
	s_and_b32 s82, s82, 0xffffff                               // 000000008670: 8652FF52 00FFFFFF
	s_cmp_lt_u32 s82, s66                                      // 000000008678: BF0A4252
	s_cselect_b32 s21, s36, s60                                // 00000000867C: 85153C24
	s_mov_b64 exec, s[20:21]                                   // 000000008680: BEFE0114
	global_atomic_add_f32 v6, v96, s[8:9]                      // 000000008684: DD348000 00086006
	global_atomic_add_f32 v6, v100, s[8:9] offset:256          // 00000000868C: DD348100 00086406
	global_atomic_add_f32 v6, v104, s[8:9] offset:512          // 000000008694: DD348200 00086806
	global_atomic_add_f32 v6, v108, s[8:9] offset:768          // 00000000869C: DD348300 00086C06
	s_mov_b64 exec, s[36:37]                                   // 0000000086A4: BEFE0124
	v_mov_b32_e32 v6, v53                                      // 0000000086A8: 7E0C0335
	s_mov_b64 s[60:61], 0                                      // 0000000086AC: BEBC0180
	v_readlane_b32 s82, v3, 10                                 // 0000000086B0: D2890052 00011503
	s_and_b32 s82, s82, 0xffffff                               // 0000000086B8: 8652FF52 00FFFFFF
	s_cmp_lt_u32 s82, s66                                      // 0000000086C0: BF0A4252
	s_cselect_b32 s20, s36, s60                                // 0000000086C4: 85143C24
	v_readlane_b32 s82, v3, 11                                 // 0000000086C8: D2890052 00011703
	s_and_b32 s82, s82, 0xffffff                               // 0000000086D0: 8652FF52 00FFFFFF
	s_cmp_lt_u32 s82, s66                                      // 0000000086D8: BF0A4252
	s_cselect_b32 s21, s36, s60                                // 0000000086DC: 85153C24
	s_mov_b64 exec, s[20:21]                                   // 0000000086E0: BEFE0114
	global_atomic_add_f32 v6, v97, s[8:9]                      // 0000000086E4: DD348000 00086106
	global_atomic_add_f32 v6, v101, s[8:9] offset:256          // 0000000086EC: DD348100 00086506
	global_atomic_add_f32 v6, v105, s[8:9] offset:512          // 0000000086F4: DD348200 00086906
	global_atomic_add_f32 v6, v109, s[8:9] offset:768          // 0000000086FC: DD348300 00086D06
	s_mov_b64 exec, s[36:37]                                   // 000000008704: BEFE0124
	v_mov_b32_e32 v6, v54                                      // 000000008708: 7E0C0336
	s_mov_b64 s[60:61], 0                                      // 00000000870C: BEBC0180
	v_readlane_b32 s82, v3, 12                                 // 000000008710: D2890052 00011903
	s_and_b32 s82, s82, 0xffffff                               // 000000008718: 8652FF52 00FFFFFF
	s_cmp_lt_u32 s82, s66                                      // 000000008720: BF0A4252
	s_cselect_b32 s20, s36, s60                                // 000000008724: 85143C24
	v_readlane_b32 s82, v3, 13                                 // 000000008728: D2890052 00011B03
	s_and_b32 s82, s82, 0xffffff                               // 000000008730: 8652FF52 00FFFFFF
	s_cmp_lt_u32 s82, s66                                      // 000000008738: BF0A4252
	s_cselect_b32 s21, s36, s60                                // 00000000873C: 85153C24
	s_mov_b64 exec, s[20:21]                                   // 000000008740: BEFE0114
	global_atomic_add_f32 v6, v112, s[8:9]                     // 000000008744: DD348000 00087006
	global_atomic_add_f32 v6, v116, s[8:9] offset:256          // 00000000874C: DD348100 00087406
	global_atomic_add_f32 v6, v120, s[8:9] offset:512          // 000000008754: DD348200 00087806
	global_atomic_add_f32 v6, v124, s[8:9] offset:768          // 00000000875C: DD348300 00087C06
	s_mov_b64 exec, s[36:37]                                   // 000000008764: BEFE0124
	v_mov_b32_e32 v6, v55                                      // 000000008768: 7E0C0337
	s_mov_b64 s[60:61], 0                                      // 00000000876C: BEBC0180
	v_readlane_b32 s82, v3, 14                                 // 000000008770: D2890052 00011D03
	s_and_b32 s82, s82, 0xffffff                               // 000000008778: 8652FF52 00FFFFFF
	s_cmp_lt_u32 s82, s66                                      // 000000008780: BF0A4252
	s_cselect_b32 s20, s36, s60                                // 000000008784: 85143C24
	v_readlane_b32 s82, v3, 15                                 // 000000008788: D2890052 00011F03
	s_and_b32 s82, s82, 0xffffff                               // 000000008790: 8652FF52 00FFFFFF
	s_cmp_lt_u32 s82, s66                                      // 000000008798: BF0A4252
	s_cselect_b32 s21, s36, s60                                // 00000000879C: 85153C24
	s_mov_b64 exec, s[20:21]                                   // 0000000087A0: BEFE0114
	global_atomic_add_f32 v6, v113, s[8:9]                     // 0000000087A4: DD348000 00087106
	global_atomic_add_f32 v6, v117, s[8:9] offset:256          // 0000000087AC: DD348100 00087506
	global_atomic_add_f32 v6, v121, s[8:9] offset:512          // 0000000087B4: DD348200 00087906
	global_atomic_add_f32 v6, v125, s[8:9] offset:768          // 0000000087BC: DD348300 00087D06
	s_mov_b64 exec, s[36:37]                                   // 0000000087C4: BEFE0124
	v_mov_b32_e32 v6, v56                                      // 0000000087C8: 7E0C0338
	s_mov_b64 s[60:61], 0                                      // 0000000087CC: BEBC0180
	v_readlane_b32 s82, v3, 16                                 // 0000000087D0: D2890052 00012103
	s_and_b32 s82, s82, 0xffffff                               // 0000000087D8: 8652FF52 00FFFFFF
	s_cmp_lt_u32 s82, s66                                      // 0000000087E0: BF0A4252
	s_cselect_b32 s20, s36, s60                                // 0000000087E4: 85143C24
	v_readlane_b32 s82, v3, 17                                 // 0000000087E8: D2890052 00012303
	s_and_b32 s82, s82, 0xffffff                               // 0000000087F0: 8652FF52 00FFFFFF
	s_cmp_lt_u32 s82, s66                                      // 0000000087F8: BF0A4252
	s_cselect_b32 s21, s36, s60                                // 0000000087FC: 85153C24
	s_mov_b64 exec, s[20:21]                                   // 000000008800: BEFE0114
	global_atomic_add_f32 v6, v128, s[8:9]                     // 000000008804: DD348000 00088006
	global_atomic_add_f32 v6, v132, s[8:9] offset:256          // 00000000880C: DD348100 00088406
	global_atomic_add_f32 v6, v136, s[8:9] offset:512          // 000000008814: DD348200 00088806
	global_atomic_add_f32 v6, v140, s[8:9] offset:768          // 00000000881C: DD348300 00088C06
	s_mov_b64 exec, s[36:37]                                   // 000000008824: BEFE0124
	v_mov_b32_e32 v6, v57                                      // 000000008828: 7E0C0339
	s_mov_b64 s[60:61], 0                                      // 00000000882C: BEBC0180
	v_readlane_b32 s82, v3, 18                                 // 000000008830: D2890052 00012503
	s_and_b32 s82, s82, 0xffffff                               // 000000008838: 8652FF52 00FFFFFF
	s_cmp_lt_u32 s82, s66                                      // 000000008840: BF0A4252
	s_cselect_b32 s20, s36, s60                                // 000000008844: 85143C24
	v_readlane_b32 s82, v3, 19                                 // 000000008848: D2890052 00012703
	s_and_b32 s82, s82, 0xffffff                               // 000000008850: 8652FF52 00FFFFFF
	s_cmp_lt_u32 s82, s66                                      // 000000008858: BF0A4252
	s_cselect_b32 s21, s36, s60                                // 00000000885C: 85153C24
	s_mov_b64 exec, s[20:21]                                   // 000000008860: BEFE0114
	global_atomic_add_f32 v6, v129, s[8:9]                     // 000000008864: DD348000 00088106
	global_atomic_add_f32 v6, v133, s[8:9] offset:256          // 00000000886C: DD348100 00088506
	global_atomic_add_f32 v6, v137, s[8:9] offset:512          // 000000008874: DD348200 00088906
	global_atomic_add_f32 v6, v141, s[8:9] offset:768          // 00000000887C: DD348300 00088D06
	s_mov_b64 exec, s[36:37]                                   // 000000008884: BEFE0124
	ds_write_b64 v20, v[66:67]                                 // 000000008888: D89A0000 00004214
	ds_write_b64 v20, v[70:71] offset:8704                     // 000000008890: D89A2200 00004614
	ds_write_b64 v20, v[74:75] offset:17408                    // 000000008898: D89A4400 00004A14
	ds_write_b64 v20, v[78:79] offset:26112                    // 0000000088A0: D89A6600 00004E14
	ds_write_b64 v20, v[82:83] offset:34816                    // 0000000088A8: D89A8800 00005214
	ds_write_b64 v20, v[86:87] offset:2176                     // 0000000088B0: D89A0880 00005614
	ds_write_b64 v20, v[90:91] offset:10880                    // 0000000088B8: D89A2A80 00005A14
	ds_write_b64 v20, v[94:95] offset:19584                    // 0000000088C0: D89A4C80 00005E14
	ds_write_b64 v20, v[98:99] offset:28288                    // 0000000088C8: D89A6E80 00006214
	ds_write_b64 v20, v[102:103] offset:36992                  // 0000000088D0: D89A9080 00006614
	ds_write_b64 v20, v[106:107] offset:4352                   // 0000000088D8: D89A1100 00006A14
	ds_write_b64 v20, v[110:111] offset:13056                  // 0000000088E0: D89A3300 00006E14
	ds_write_b64 v20, v[114:115] offset:21760                  // 0000000088E8: D89A5500 00007214
	ds_write_b64 v20, v[118:119] offset:30464                  // 0000000088F0: D89A7700 00007614
	ds_write_b64 v20, v[122:123] offset:39168                  // 0000000088F8: D89A9900 00007A14
	ds_write_b64 v20, v[126:127] offset:6528                   // 000000008900: D89A1980 00007E14
	ds_write_b64 v20, v[130:131] offset:15232                  // 000000008908: D89A3B80 00008214
	ds_write_b64 v20, v[134:135] offset:23936                  // 000000008910: D89A5D80 00008614
	ds_write_b64 v20, v[138:139] offset:32640                  // 000000008918: D89A7F80 00008A14
	ds_write_b64 v20, v[142:143] offset:41344                  // 000000008920: D89AA180 00008E14
	s_waitcnt lgkmcnt(0)                                       // 000000008928: BF8CC07F
	s_barrier                                                  // 00000000892C: BF8A0000
	ds_read_b32 v66, v21                                       // 000000008930: D86C0000 42000015
	ds_read_b32 v67, v21 offset:64                             // 000000008938: D86C0040 43000015
	ds_read_b32 v70, v21 offset:2176                           // 000000008940: D86C0880 46000015
	ds_read_b32 v71, v21 offset:2240                           // 000000008948: D86C08C0 47000015
	ds_read_b32 v74, v21 offset:4352                           // 000000008950: D86C1100 4A000015
	ds_read_b32 v75, v21 offset:4416                           // 000000008958: D86C1140 4B000015
	ds_read_b32 v78, v21 offset:6528                           // 000000008960: D86C1980 4E000015
	ds_read_b32 v79, v21 offset:6592                           // 000000008968: D86C19C0 4F000015
	ds_read_b32 v82, v21 offset:8704                           // 000000008970: D86C2200 52000015
	ds_read_b32 v83, v21 offset:8768                           // 000000008978: D86C2240 53000015
	ds_read_b32 v86, v21 offset:10880                          // 000000008980: D86C2A80 56000015
	ds_read_b32 v87, v21 offset:10944                          // 000000008988: D86C2AC0 57000015
	ds_read_b32 v90, v21 offset:13056                          // 000000008990: D86C3300 5A000015
	ds_read_b32 v91, v21 offset:13120                          // 000000008998: D86C3340 5B000015
	ds_read_b32 v94, v21 offset:15232                          // 0000000089A0: D86C3B80 5E000015
	ds_read_b32 v95, v21 offset:15296                          // 0000000089A8: D86C3BC0 5F000015
	ds_read_b32 v98, v21 offset:17408                          // 0000000089B0: D86C4400 62000015
	ds_read_b32 v99, v21 offset:17472                          // 0000000089B8: D86C4440 63000015
	ds_read_b32 v102, v21 offset:19584                         // 0000000089C0: D86C4C80 66000015
	ds_read_b32 v103, v21 offset:19648                         // 0000000089C8: D86C4CC0 67000015
	ds_read_b32 v106, v21 offset:21760                         // 0000000089D0: D86C5500 6A000015
	ds_read_b32 v107, v21 offset:21824                         // 0000000089D8: D86C5540 6B000015
	ds_read_b32 v110, v21 offset:23936                         // 0000000089E0: D86C5D80 6E000015
	ds_read_b32 v111, v21 offset:24000                         // 0000000089E8: D86C5DC0 6F000015
	ds_read_b32 v114, v21 offset:26112                         // 0000000089F0: D86C6600 72000015
	ds_read_b32 v115, v21 offset:26176                         // 0000000089F8: D86C6640 73000015
	ds_read_b32 v118, v21 offset:28288                         // 000000008A00: D86C6E80 76000015
	ds_read_b32 v119, v21 offset:28352                         // 000000008A08: D86C6EC0 77000015
	ds_read_b32 v122, v21 offset:30464                         // 000000008A10: D86C7700 7A000015
	ds_read_b32 v123, v21 offset:30528                         // 000000008A18: D86C7740 7B000015
	ds_read_b32 v126, v21 offset:32640                         // 000000008A20: D86C7F80 7E000015
	ds_read_b32 v127, v21 offset:32704                         // 000000008A28: D86C7FC0 7F000015
	ds_read_b32 v130, v21 offset:34816                         // 000000008A30: D86C8800 82000015
	ds_read_b32 v131, v21 offset:34880                         // 000000008A38: D86C8840 83000015
	ds_read_b32 v134, v21 offset:36992                         // 000000008A40: D86C9080 86000015
	ds_read_b32 v135, v21 offset:37056                         // 000000008A48: D86C90C0 87000015
	ds_read_b32 v138, v21 offset:39168                         // 000000008A50: D86C9900 8A000015
	ds_read_b32 v139, v21 offset:39232                         // 000000008A58: D86C9940 8B000015
	ds_read_b32 v142, v21 offset:41344                         // 000000008A60: D86CA180 8E000015
	ds_read_b32 v143, v21 offset:41408                         // 000000008A68: D86CA1C0 8F000015
	s_waitcnt lgkmcnt(0)                                       // 000000008A70: BF8CC07F
	v_mov_b32_e32 v7, 0                                        // 000000008A74: 7E0E0280
	s_mov_b64 exec, s[36:37]                                   // 000000008A78: BEFE0124
	v_mov_b32_e32 v6, v48                                      // 000000008A7C: 7E0C0330
	s_mov_b64 s[60:61], 0                                      // 000000008A80: BEBC0180
	v_readlane_b32 s82, v3, 0                                  // 000000008A84: D2890052 00010103
	s_and_b32 s82, s82, 0xffffff                               // 000000008A8C: 8652FF52 00FFFFFF
	s_cmp_lt_u32 s82, s66                                      // 000000008A94: BF0A4252
	s_cselect_b32 s20, s36, s60                                // 000000008A98: 85143C24
	v_readlane_b32 s82, v3, 1                                  // 000000008A9C: D2890052 00010303
	s_and_b32 s82, s82, 0xffffff                               // 000000008AA4: 8652FF52 00FFFFFF
	s_cmp_lt_u32 s82, s66                                      // 000000008AAC: BF0A4252
	s_cselect_b32 s21, s36, s60                                // 000000008AB0: 85153C24
	s_mov_b64 exec, s[20:21]                                   // 000000008AB4: BEFE0114
	global_atomic_add_f32 v6, v66, s[8:9] offset:8             // 000000008AB8: DD348008 00084206
	global_atomic_add_f32 v6, v70, s[8:9] offset:264           // 000000008AC0: DD348108 00084606
	global_atomic_add_f32 v6, v74, s[8:9] offset:520           // 000000008AC8: DD348208 00084A06
	global_atomic_add_f32 v6, v78, s[8:9] offset:776           // 000000008AD0: DD348308 00084E06
	s_mov_b64 exec, s[36:37]                                   // 000000008AD8: BEFE0124
	v_mov_b32_e32 v6, v49                                      // 000000008ADC: 7E0C0331
	s_mov_b64 s[60:61], 0                                      // 000000008AE0: BEBC0180
	v_readlane_b32 s82, v3, 2                                  // 000000008AE4: D2890052 00010503
	s_and_b32 s82, s82, 0xffffff                               // 000000008AEC: 8652FF52 00FFFFFF
	s_cmp_lt_u32 s82, s66                                      // 000000008AF4: BF0A4252
	s_cselect_b32 s20, s36, s60                                // 000000008AF8: 85143C24
	v_readlane_b32 s82, v3, 3                                  // 000000008AFC: D2890052 00010703
	s_and_b32 s82, s82, 0xffffff                               // 000000008B04: 8652FF52 00FFFFFF
	s_cmp_lt_u32 s82, s66                                      // 000000008B0C: BF0A4252
	s_cselect_b32 s21, s36, s60                                // 000000008B10: 85153C24
	s_mov_b64 exec, s[20:21]                                   // 000000008B14: BEFE0114
	global_atomic_add_f32 v6, v67, s[8:9] offset:8             // 000000008B18: DD348008 00084306
	global_atomic_add_f32 v6, v71, s[8:9] offset:264           // 000000008B20: DD348108 00084706
	global_atomic_add_f32 v6, v75, s[8:9] offset:520           // 000000008B28: DD348208 00084B06
	global_atomic_add_f32 v6, v79, s[8:9] offset:776           // 000000008B30: DD348308 00084F06
	s_mov_b64 exec, s[36:37]                                   // 000000008B38: BEFE0124
	v_mov_b32_e32 v6, v50                                      // 000000008B3C: 7E0C0332
	s_mov_b64 s[60:61], 0                                      // 000000008B40: BEBC0180
	v_readlane_b32 s82, v3, 4                                  // 000000008B44: D2890052 00010903
	s_and_b32 s82, s82, 0xffffff                               // 000000008B4C: 8652FF52 00FFFFFF
	s_cmp_lt_u32 s82, s66                                      // 000000008B54: BF0A4252
	s_cselect_b32 s20, s36, s60                                // 000000008B58: 85143C24
	v_readlane_b32 s82, v3, 5                                  // 000000008B5C: D2890052 00010B03
	s_and_b32 s82, s82, 0xffffff                               // 000000008B64: 8652FF52 00FFFFFF
	s_cmp_lt_u32 s82, s66                                      // 000000008B6C: BF0A4252
	s_cselect_b32 s21, s36, s60                                // 000000008B70: 85153C24
	s_mov_b64 exec, s[20:21]                                   // 000000008B74: BEFE0114
	global_atomic_add_f32 v6, v82, s[8:9] offset:8             // 000000008B78: DD348008 00085206
	global_atomic_add_f32 v6, v86, s[8:9] offset:264           // 000000008B80: DD348108 00085606
	global_atomic_add_f32 v6, v90, s[8:9] offset:520           // 000000008B88: DD348208 00085A06
	global_atomic_add_f32 v6, v94, s[8:9] offset:776           // 000000008B90: DD348308 00085E06
	s_mov_b64 exec, s[36:37]                                   // 000000008B98: BEFE0124
	v_mov_b32_e32 v6, v51                                      // 000000008B9C: 7E0C0333
	s_mov_b64 s[60:61], 0                                      // 000000008BA0: BEBC0180
	v_readlane_b32 s82, v3, 6                                  // 000000008BA4: D2890052 00010D03
	s_and_b32 s82, s82, 0xffffff                               // 000000008BAC: 8652FF52 00FFFFFF
	s_cmp_lt_u32 s82, s66                                      // 000000008BB4: BF0A4252
	s_cselect_b32 s20, s36, s60                                // 000000008BB8: 85143C24
	v_readlane_b32 s82, v3, 7                                  // 000000008BBC: D2890052 00010F03
	s_and_b32 s82, s82, 0xffffff                               // 000000008BC4: 8652FF52 00FFFFFF
	s_cmp_lt_u32 s82, s66                                      // 000000008BCC: BF0A4252
	s_cselect_b32 s21, s36, s60                                // 000000008BD0: 85153C24
	s_mov_b64 exec, s[20:21]                                   // 000000008BD4: BEFE0114
	global_atomic_add_f32 v6, v83, s[8:9] offset:8             // 000000008BD8: DD348008 00085306
	global_atomic_add_f32 v6, v87, s[8:9] offset:264           // 000000008BE0: DD348108 00085706
	global_atomic_add_f32 v6, v91, s[8:9] offset:520           // 000000008BE8: DD348208 00085B06
	global_atomic_add_f32 v6, v95, s[8:9] offset:776           // 000000008BF0: DD348308 00085F06
	s_mov_b64 exec, s[36:37]                                   // 000000008BF8: BEFE0124
	v_mov_b32_e32 v6, v52                                      // 000000008BFC: 7E0C0334
	s_mov_b64 s[60:61], 0                                      // 000000008C00: BEBC0180
	v_readlane_b32 s82, v3, 8                                  // 000000008C04: D2890052 00011103
	s_and_b32 s82, s82, 0xffffff                               // 000000008C0C: 8652FF52 00FFFFFF
	s_cmp_lt_u32 s82, s66                                      // 000000008C14: BF0A4252
	s_cselect_b32 s20, s36, s60                                // 000000008C18: 85143C24
	v_readlane_b32 s82, v3, 9                                  // 000000008C1C: D2890052 00011303
	s_and_b32 s82, s82, 0xffffff                               // 000000008C24: 8652FF52 00FFFFFF
	s_cmp_lt_u32 s82, s66                                      // 000000008C2C: BF0A4252
	s_cselect_b32 s21, s36, s60                                // 000000008C30: 85153C24
	s_mov_b64 exec, s[20:21]                                   // 000000008C34: BEFE0114
	global_atomic_add_f32 v6, v98, s[8:9] offset:8             // 000000008C38: DD348008 00086206
	global_atomic_add_f32 v6, v102, s[8:9] offset:264          // 000000008C40: DD348108 00086606
	global_atomic_add_f32 v6, v106, s[8:9] offset:520          // 000000008C48: DD348208 00086A06
	global_atomic_add_f32 v6, v110, s[8:9] offset:776          // 000000008C50: DD348308 00086E06
	s_mov_b64 exec, s[36:37]                                   // 000000008C58: BEFE0124
	v_mov_b32_e32 v6, v53                                      // 000000008C5C: 7E0C0335
	s_mov_b64 s[60:61], 0                                      // 000000008C60: BEBC0180
	v_readlane_b32 s82, v3, 10                                 // 000000008C64: D2890052 00011503
	s_and_b32 s82, s82, 0xffffff                               // 000000008C6C: 8652FF52 00FFFFFF
	s_cmp_lt_u32 s82, s66                                      // 000000008C74: BF0A4252
	s_cselect_b32 s20, s36, s60                                // 000000008C78: 85143C24
	v_readlane_b32 s82, v3, 11                                 // 000000008C7C: D2890052 00011703
	s_and_b32 s82, s82, 0xffffff                               // 000000008C84: 8652FF52 00FFFFFF
	s_cmp_lt_u32 s82, s66                                      // 000000008C8C: BF0A4252
	s_cselect_b32 s21, s36, s60                                // 000000008C90: 85153C24
	s_mov_b64 exec, s[20:21]                                   // 000000008C94: BEFE0114
	global_atomic_add_f32 v6, v99, s[8:9] offset:8             // 000000008C98: DD348008 00086306
	global_atomic_add_f32 v6, v103, s[8:9] offset:264          // 000000008CA0: DD348108 00086706
	global_atomic_add_f32 v6, v107, s[8:9] offset:520          // 000000008CA8: DD348208 00086B06
	global_atomic_add_f32 v6, v111, s[8:9] offset:776          // 000000008CB0: DD348308 00086F06
	s_mov_b64 exec, s[36:37]                                   // 000000008CB8: BEFE0124
	v_mov_b32_e32 v6, v54                                      // 000000008CBC: 7E0C0336
	s_mov_b64 s[60:61], 0                                      // 000000008CC0: BEBC0180
	v_readlane_b32 s82, v3, 12                                 // 000000008CC4: D2890052 00011903
	s_and_b32 s82, s82, 0xffffff                               // 000000008CCC: 8652FF52 00FFFFFF
	s_cmp_lt_u32 s82, s66                                      // 000000008CD4: BF0A4252
	s_cselect_b32 s20, s36, s60                                // 000000008CD8: 85143C24
	v_readlane_b32 s82, v3, 13                                 // 000000008CDC: D2890052 00011B03
	s_and_b32 s82, s82, 0xffffff                               // 000000008CE4: 8652FF52 00FFFFFF
	s_cmp_lt_u32 s82, s66                                      // 000000008CEC: BF0A4252
	s_cselect_b32 s21, s36, s60                                // 000000008CF0: 85153C24
	s_mov_b64 exec, s[20:21]                                   // 000000008CF4: BEFE0114
	global_atomic_add_f32 v6, v114, s[8:9] offset:8            // 000000008CF8: DD348008 00087206
	global_atomic_add_f32 v6, v118, s[8:9] offset:264          // 000000008D00: DD348108 00087606
	global_atomic_add_f32 v6, v122, s[8:9] offset:520          // 000000008D08: DD348208 00087A06
	global_atomic_add_f32 v6, v126, s[8:9] offset:776          // 000000008D10: DD348308 00087E06
	s_mov_b64 exec, s[36:37]                                   // 000000008D18: BEFE0124
	v_mov_b32_e32 v6, v55                                      // 000000008D1C: 7E0C0337
	s_mov_b64 s[60:61], 0                                      // 000000008D20: BEBC0180
	v_readlane_b32 s82, v3, 14                                 // 000000008D24: D2890052 00011D03
	s_and_b32 s82, s82, 0xffffff                               // 000000008D2C: 8652FF52 00FFFFFF
	s_cmp_lt_u32 s82, s66                                      // 000000008D34: BF0A4252
	s_cselect_b32 s20, s36, s60                                // 000000008D38: 85143C24
	v_readlane_b32 s82, v3, 15                                 // 000000008D3C: D2890052 00011F03
	s_and_b32 s82, s82, 0xffffff                               // 000000008D44: 8652FF52 00FFFFFF
	s_cmp_lt_u32 s82, s66                                      // 000000008D4C: BF0A4252
	s_cselect_b32 s21, s36, s60                                // 000000008D50: 85153C24
	s_mov_b64 exec, s[20:21]                                   // 000000008D54: BEFE0114
	global_atomic_add_f32 v6, v115, s[8:9] offset:8            // 000000008D58: DD348008 00087306
	global_atomic_add_f32 v6, v119, s[8:9] offset:264          // 000000008D60: DD348108 00087706
	global_atomic_add_f32 v6, v123, s[8:9] offset:520          // 000000008D68: DD348208 00087B06
	global_atomic_add_f32 v6, v127, s[8:9] offset:776          // 000000008D70: DD348308 00087F06
	s_mov_b64 exec, s[36:37]                                   // 000000008D78: BEFE0124
	v_mov_b32_e32 v6, v56                                      // 000000008D7C: 7E0C0338
	s_mov_b64 s[60:61], 0                                      // 000000008D80: BEBC0180
	v_readlane_b32 s82, v3, 16                                 // 000000008D84: D2890052 00012103
	s_and_b32 s82, s82, 0xffffff                               // 000000008D8C: 8652FF52 00FFFFFF
	s_cmp_lt_u32 s82, s66                                      // 000000008D94: BF0A4252
	s_cselect_b32 s20, s36, s60                                // 000000008D98: 85143C24
	v_readlane_b32 s82, v3, 17                                 // 000000008D9C: D2890052 00012303
	s_and_b32 s82, s82, 0xffffff                               // 000000008DA4: 8652FF52 00FFFFFF
	s_cmp_lt_u32 s82, s66                                      // 000000008DAC: BF0A4252
	s_cselect_b32 s21, s36, s60                                // 000000008DB0: 85153C24
	s_mov_b64 exec, s[20:21]                                   // 000000008DB4: BEFE0114
	global_atomic_add_f32 v6, v130, s[8:9] offset:8            // 000000008DB8: DD348008 00088206
	global_atomic_add_f32 v6, v134, s[8:9] offset:264          // 000000008DC0: DD348108 00088606
	global_atomic_add_f32 v6, v138, s[8:9] offset:520          // 000000008DC8: DD348208 00088A06
	global_atomic_add_f32 v6, v142, s[8:9] offset:776          // 000000008DD0: DD348308 00088E06
	s_mov_b64 exec, s[36:37]                                   // 000000008DD8: BEFE0124
	v_mov_b32_e32 v6, v57                                      // 000000008DDC: 7E0C0339
	s_mov_b64 s[60:61], 0                                      // 000000008DE0: BEBC0180
	v_readlane_b32 s82, v3, 18                                 // 000000008DE4: D2890052 00012503
	s_and_b32 s82, s82, 0xffffff                               // 000000008DEC: 8652FF52 00FFFFFF
	s_cmp_lt_u32 s82, s66                                      // 000000008DF4: BF0A4252
	s_cselect_b32 s20, s36, s60                                // 000000008DF8: 85143C24
	v_readlane_b32 s82, v3, 19                                 // 000000008DFC: D2890052 00012703
	s_and_b32 s82, s82, 0xffffff                               // 000000008E04: 8652FF52 00FFFFFF
	s_cmp_lt_u32 s82, s66                                      // 000000008E0C: BF0A4252
	s_cselect_b32 s21, s36, s60                                // 000000008E10: 85153C24
	s_mov_b64 exec, s[20:21]                                   // 000000008E14: BEFE0114
	global_atomic_add_f32 v6, v131, s[8:9] offset:8            // 000000008E18: DD348008 00088306
	global_atomic_add_f32 v6, v135, s[8:9] offset:264          // 000000008E20: DD348108 00088706
	global_atomic_add_f32 v6, v139, s[8:9] offset:520          // 000000008E28: DD348208 00088B06
	global_atomic_add_f32 v6, v143, s[8:9] offset:776          // 000000008E30: DD348308 00088F06
	s_mov_b64 exec, s[36:37]                                   // 000000008E38: BEFE0124
	ds_write_b64 v20, v[144:145]                               // 000000008E3C: D89A0000 00009014
	ds_write_b64 v20, v[148:149] offset:8704                   // 000000008E44: D89A2200 00009414
	ds_write_b64 v20, v[152:153] offset:17408                  // 000000008E4C: D89A4400 00009814
	ds_write_b64 v20, v[156:157] offset:26112                  // 000000008E54: D89A6600 00009C14
	ds_write_b64 v20, v[160:161] offset:34816                  // 000000008E5C: D89A8800 0000A014
	ds_write_b64 v20, v[164:165] offset:2176                   // 000000008E64: D89A0880 0000A414
	ds_write_b64 v20, v[168:169] offset:10880                  // 000000008E6C: D89A2A80 0000A814
	ds_write_b64 v20, v[172:173] offset:19584                  // 000000008E74: D89A4C80 0000AC14
	ds_write_b64 v20, v[176:177] offset:28288                  // 000000008E7C: D89A6E80 0000B014
	ds_write_b64 v20, v[180:181] offset:36992                  // 000000008E84: D89A9080 0000B414
	ds_write_b64 v20, v[184:185] offset:4352                   // 000000008E8C: D89A1100 0000B814
	ds_write_b64 v20, v[188:189] offset:13056                  // 000000008E94: D89A3300 0000BC14
	ds_write_b64 v20, v[192:193] offset:21760                  // 000000008E9C: D89A5500 0000C014
	ds_write_b64 v20, v[196:197] offset:30464                  // 000000008EA4: D89A7700 0000C414
	ds_write_b64 v20, v[200:201] offset:39168                  // 000000008EAC: D89A9900 0000C814
	ds_write_b64 v20, v[204:205] offset:6528                   // 000000008EB4: D89A1980 0000CC14
	ds_write_b64 v20, v[208:209] offset:15232                  // 000000008EBC: D89A3B80 0000D014
	ds_write_b64 v20, v[212:213] offset:23936                  // 000000008EC4: D89A5D80 0000D414
	ds_write_b64 v20, v[216:217] offset:32640                  // 000000008ECC: D89A7F80 0000D814
	ds_write_b64 v20, v[220:221] offset:41344                  // 000000008ED4: D89AA180 0000DC14
	s_waitcnt lgkmcnt(0)                                       // 000000008EDC: BF8CC07F
	s_barrier                                                  // 000000008EE0: BF8A0000
	ds_read_b32 v144, v21                                      // 000000008EE4: D86C0000 90000015
	ds_read_b32 v145, v21 offset:64                            // 000000008EEC: D86C0040 91000015
	ds_read_b32 v148, v21 offset:2176                          // 000000008EF4: D86C0880 94000015
	ds_read_b32 v149, v21 offset:2240                          // 000000008EFC: D86C08C0 95000015
	ds_read_b32 v152, v21 offset:4352                          // 000000008F04: D86C1100 98000015
	ds_read_b32 v153, v21 offset:4416                          // 000000008F0C: D86C1140 99000015
	ds_read_b32 v156, v21 offset:6528                          // 000000008F14: D86C1980 9C000015
	ds_read_b32 v157, v21 offset:6592                          // 000000008F1C: D86C19C0 9D000015
	ds_read_b32 v160, v21 offset:8704                          // 000000008F24: D86C2200 A0000015
	ds_read_b32 v161, v21 offset:8768                          // 000000008F2C: D86C2240 A1000015
	ds_read_b32 v164, v21 offset:10880                         // 000000008F34: D86C2A80 A4000015
	ds_read_b32 v165, v21 offset:10944                         // 000000008F3C: D86C2AC0 A5000015
	ds_read_b32 v168, v21 offset:13056                         // 000000008F44: D86C3300 A8000015
	ds_read_b32 v169, v21 offset:13120                         // 000000008F4C: D86C3340 A9000015
	ds_read_b32 v172, v21 offset:15232                         // 000000008F54: D86C3B80 AC000015
	ds_read_b32 v173, v21 offset:15296                         // 000000008F5C: D86C3BC0 AD000015
	ds_read_b32 v176, v21 offset:17408                         // 000000008F64: D86C4400 B0000015
	ds_read_b32 v177, v21 offset:17472                         // 000000008F6C: D86C4440 B1000015
	ds_read_b32 v180, v21 offset:19584                         // 000000008F74: D86C4C80 B4000015
	ds_read_b32 v181, v21 offset:19648                         // 000000008F7C: D86C4CC0 B5000015
	ds_read_b32 v184, v21 offset:21760                         // 000000008F84: D86C5500 B8000015
	ds_read_b32 v185, v21 offset:21824                         // 000000008F8C: D86C5540 B9000015
	ds_read_b32 v188, v21 offset:23936                         // 000000008F94: D86C5D80 BC000015
	ds_read_b32 v189, v21 offset:24000                         // 000000008F9C: D86C5DC0 BD000015
	ds_read_b32 v192, v21 offset:26112                         // 000000008FA4: D86C6600 C0000015
	ds_read_b32 v193, v21 offset:26176                         // 000000008FAC: D86C6640 C1000015
	ds_read_b32 v196, v21 offset:28288                         // 000000008FB4: D86C6E80 C4000015
	ds_read_b32 v197, v21 offset:28352                         // 000000008FBC: D86C6EC0 C5000015
	ds_read_b32 v200, v21 offset:30464                         // 000000008FC4: D86C7700 C8000015
	ds_read_b32 v201, v21 offset:30528                         // 000000008FCC: D86C7740 C9000015
	ds_read_b32 v204, v21 offset:32640                         // 000000008FD4: D86C7F80 CC000015
	ds_read_b32 v205, v21 offset:32704                         // 000000008FDC: D86C7FC0 CD000015
	ds_read_b32 v208, v21 offset:34816                         // 000000008FE4: D86C8800 D0000015
	ds_read_b32 v209, v21 offset:34880                         // 000000008FEC: D86C8840 D1000015
	ds_read_b32 v212, v21 offset:36992                         // 000000008FF4: D86C9080 D4000015
	ds_read_b32 v213, v21 offset:37056                         // 000000008FFC: D86C90C0 D5000015
	ds_read_b32 v216, v21 offset:39168                         // 000000009004: D86C9900 D8000015
	ds_read_b32 v217, v21 offset:39232                         // 00000000900C: D86C9940 D9000015
	ds_read_b32 v220, v21 offset:41344                         // 000000009014: D86CA180 DC000015
	ds_read_b32 v221, v21 offset:41408                         // 00000000901C: D86CA1C0 DD000015
	s_mul_i32 s60, s65, 4                                      // 000000009024: 923C8441
	s_add_u32 s8, s60, s8                                      // 000000009028: 8008083C
	s_addc_u32 s9, 0, s9                                       // 00000000902C: 82090980
	s_waitcnt lgkmcnt(0)                                       // 000000009030: BF8CC07F
	v_mov_b32_e32 v7, 0                                        // 000000009034: 7E0E0280
	s_mov_b64 exec, s[36:37]                                   // 000000009038: BEFE0124
	v_mov_b32_e32 v6, v48                                      // 00000000903C: 7E0C0330
	s_mov_b64 s[60:61], 0                                      // 000000009040: BEBC0180
	v_readlane_b32 s82, v3, 0                                  // 000000009044: D2890052 00010103
	s_and_b32 s82, s82, 0xffffff                               // 00000000904C: 8652FF52 00FFFFFF
	s_cmp_lt_u32 s82, s66                                      // 000000009054: BF0A4252
	s_cselect_b32 s20, s36, s60                                // 000000009058: 85143C24
	v_readlane_b32 s82, v3, 1                                  // 00000000905C: D2890052 00010303
	s_and_b32 s82, s82, 0xffffff                               // 000000009064: 8652FF52 00FFFFFF
	s_cmp_lt_u32 s82, s66                                      // 00000000906C: BF0A4252
	s_cselect_b32 s21, s36, s60                                // 000000009070: 85153C24
	s_mov_b64 exec, s[20:21]                                   // 000000009074: BEFE0114
	global_atomic_add_f32 v6, v144, s[8:9]                     // 000000009078: DD348000 00089006
	global_atomic_add_f32 v6, v148, s[8:9] offset:256          // 000000009080: DD348100 00089406
	global_atomic_add_f32 v6, v152, s[8:9] offset:512          // 000000009088: DD348200 00089806
	global_atomic_add_f32 v6, v156, s[8:9] offset:768          // 000000009090: DD348300 00089C06
	s_mov_b64 exec, s[36:37]                                   // 000000009098: BEFE0124
	v_mov_b32_e32 v6, v49                                      // 00000000909C: 7E0C0331
	s_mov_b64 s[60:61], 0                                      // 0000000090A0: BEBC0180
	v_readlane_b32 s82, v3, 2                                  // 0000000090A4: D2890052 00010503
	s_and_b32 s82, s82, 0xffffff                               // 0000000090AC: 8652FF52 00FFFFFF
	s_cmp_lt_u32 s82, s66                                      // 0000000090B4: BF0A4252
	s_cselect_b32 s20, s36, s60                                // 0000000090B8: 85143C24
	v_readlane_b32 s82, v3, 3                                  // 0000000090BC: D2890052 00010703
	s_and_b32 s82, s82, 0xffffff                               // 0000000090C4: 8652FF52 00FFFFFF
	s_cmp_lt_u32 s82, s66                                      // 0000000090CC: BF0A4252
	s_cselect_b32 s21, s36, s60                                // 0000000090D0: 85153C24
	s_mov_b64 exec, s[20:21]                                   // 0000000090D4: BEFE0114
	global_atomic_add_f32 v6, v145, s[8:9]                     // 0000000090D8: DD348000 00089106
	global_atomic_add_f32 v6, v149, s[8:9] offset:256          // 0000000090E0: DD348100 00089506
	global_atomic_add_f32 v6, v153, s[8:9] offset:512          // 0000000090E8: DD348200 00089906
	global_atomic_add_f32 v6, v157, s[8:9] offset:768          // 0000000090F0: DD348300 00089D06
	s_mov_b64 exec, s[36:37]                                   // 0000000090F8: BEFE0124
	v_mov_b32_e32 v6, v50                                      // 0000000090FC: 7E0C0332
	s_mov_b64 s[60:61], 0                                      // 000000009100: BEBC0180
	v_readlane_b32 s82, v3, 4                                  // 000000009104: D2890052 00010903
	s_and_b32 s82, s82, 0xffffff                               // 00000000910C: 8652FF52 00FFFFFF
	s_cmp_lt_u32 s82, s66                                      // 000000009114: BF0A4252
	s_cselect_b32 s20, s36, s60                                // 000000009118: 85143C24
	v_readlane_b32 s82, v3, 5                                  // 00000000911C: D2890052 00010B03
	s_and_b32 s82, s82, 0xffffff                               // 000000009124: 8652FF52 00FFFFFF
	s_cmp_lt_u32 s82, s66                                      // 00000000912C: BF0A4252
	s_cselect_b32 s21, s36, s60                                // 000000009130: 85153C24
	s_mov_b64 exec, s[20:21]                                   // 000000009134: BEFE0114
	global_atomic_add_f32 v6, v160, s[8:9]                     // 000000009138: DD348000 0008A006
	global_atomic_add_f32 v6, v164, s[8:9] offset:256          // 000000009140: DD348100 0008A406
	global_atomic_add_f32 v6, v168, s[8:9] offset:512          // 000000009148: DD348200 0008A806
	global_atomic_add_f32 v6, v172, s[8:9] offset:768          // 000000009150: DD348300 0008AC06
	s_mov_b64 exec, s[36:37]                                   // 000000009158: BEFE0124
	v_mov_b32_e32 v6, v51                                      // 00000000915C: 7E0C0333
	s_mov_b64 s[60:61], 0                                      // 000000009160: BEBC0180
	v_readlane_b32 s82, v3, 6                                  // 000000009164: D2890052 00010D03
	s_and_b32 s82, s82, 0xffffff                               // 00000000916C: 8652FF52 00FFFFFF
	s_cmp_lt_u32 s82, s66                                      // 000000009174: BF0A4252
	s_cselect_b32 s20, s36, s60                                // 000000009178: 85143C24
	v_readlane_b32 s82, v3, 7                                  // 00000000917C: D2890052 00010F03
	s_and_b32 s82, s82, 0xffffff                               // 000000009184: 8652FF52 00FFFFFF
	s_cmp_lt_u32 s82, s66                                      // 00000000918C: BF0A4252
	s_cselect_b32 s21, s36, s60                                // 000000009190: 85153C24
	s_mov_b64 exec, s[20:21]                                   // 000000009194: BEFE0114
	global_atomic_add_f32 v6, v161, s[8:9]                     // 000000009198: DD348000 0008A106
	global_atomic_add_f32 v6, v165, s[8:9] offset:256          // 0000000091A0: DD348100 0008A506
	global_atomic_add_f32 v6, v169, s[8:9] offset:512          // 0000000091A8: DD348200 0008A906
	global_atomic_add_f32 v6, v173, s[8:9] offset:768          // 0000000091B0: DD348300 0008AD06
	s_mov_b64 exec, s[36:37]                                   // 0000000091B8: BEFE0124
	v_mov_b32_e32 v6, v52                                      // 0000000091BC: 7E0C0334
	s_mov_b64 s[60:61], 0                                      // 0000000091C0: BEBC0180
	v_readlane_b32 s82, v3, 8                                  // 0000000091C4: D2890052 00011103
	s_and_b32 s82, s82, 0xffffff                               // 0000000091CC: 8652FF52 00FFFFFF
	s_cmp_lt_u32 s82, s66                                      // 0000000091D4: BF0A4252
	s_cselect_b32 s20, s36, s60                                // 0000000091D8: 85143C24
	v_readlane_b32 s82, v3, 9                                  // 0000000091DC: D2890052 00011303
	s_and_b32 s82, s82, 0xffffff                               // 0000000091E4: 8652FF52 00FFFFFF
	s_cmp_lt_u32 s82, s66                                      // 0000000091EC: BF0A4252
	s_cselect_b32 s21, s36, s60                                // 0000000091F0: 85153C24
	s_mov_b64 exec, s[20:21]                                   // 0000000091F4: BEFE0114
	global_atomic_add_f32 v6, v176, s[8:9]                     // 0000000091F8: DD348000 0008B006
	global_atomic_add_f32 v6, v180, s[8:9] offset:256          // 000000009200: DD348100 0008B406
	global_atomic_add_f32 v6, v184, s[8:9] offset:512          // 000000009208: DD348200 0008B806
	global_atomic_add_f32 v6, v188, s[8:9] offset:768          // 000000009210: DD348300 0008BC06
	s_mov_b64 exec, s[36:37]                                   // 000000009218: BEFE0124
	v_mov_b32_e32 v6, v53                                      // 00000000921C: 7E0C0335
	s_mov_b64 s[60:61], 0                                      // 000000009220: BEBC0180
	v_readlane_b32 s82, v3, 10                                 // 000000009224: D2890052 00011503
	s_and_b32 s82, s82, 0xffffff                               // 00000000922C: 8652FF52 00FFFFFF
	s_cmp_lt_u32 s82, s66                                      // 000000009234: BF0A4252
	s_cselect_b32 s20, s36, s60                                // 000000009238: 85143C24
	v_readlane_b32 s82, v3, 11                                 // 00000000923C: D2890052 00011703
	s_and_b32 s82, s82, 0xffffff                               // 000000009244: 8652FF52 00FFFFFF
	s_cmp_lt_u32 s82, s66                                      // 00000000924C: BF0A4252
	s_cselect_b32 s21, s36, s60                                // 000000009250: 85153C24
	s_mov_b64 exec, s[20:21]                                   // 000000009254: BEFE0114
	global_atomic_add_f32 v6, v177, s[8:9]                     // 000000009258: DD348000 0008B106
	global_atomic_add_f32 v6, v181, s[8:9] offset:256          // 000000009260: DD348100 0008B506
	global_atomic_add_f32 v6, v185, s[8:9] offset:512          // 000000009268: DD348200 0008B906
	global_atomic_add_f32 v6, v189, s[8:9] offset:768          // 000000009270: DD348300 0008BD06
	s_mov_b64 exec, s[36:37]                                   // 000000009278: BEFE0124
	v_mov_b32_e32 v6, v54                                      // 00000000927C: 7E0C0336
	s_mov_b64 s[60:61], 0                                      // 000000009280: BEBC0180
	v_readlane_b32 s82, v3, 12                                 // 000000009284: D2890052 00011903
	s_and_b32 s82, s82, 0xffffff                               // 00000000928C: 8652FF52 00FFFFFF
	s_cmp_lt_u32 s82, s66                                      // 000000009294: BF0A4252
	s_cselect_b32 s20, s36, s60                                // 000000009298: 85143C24
	v_readlane_b32 s82, v3, 13                                 // 00000000929C: D2890052 00011B03
	s_and_b32 s82, s82, 0xffffff                               // 0000000092A4: 8652FF52 00FFFFFF
	s_cmp_lt_u32 s82, s66                                      // 0000000092AC: BF0A4252
	s_cselect_b32 s21, s36, s60                                // 0000000092B0: 85153C24
	s_mov_b64 exec, s[20:21]                                   // 0000000092B4: BEFE0114
	global_atomic_add_f32 v6, v192, s[8:9]                     // 0000000092B8: DD348000 0008C006
	global_atomic_add_f32 v6, v196, s[8:9] offset:256          // 0000000092C0: DD348100 0008C406
	global_atomic_add_f32 v6, v200, s[8:9] offset:512          // 0000000092C8: DD348200 0008C806
	global_atomic_add_f32 v6, v204, s[8:9] offset:768          // 0000000092D0: DD348300 0008CC06
	s_mov_b64 exec, s[36:37]                                   // 0000000092D8: BEFE0124
	v_mov_b32_e32 v6, v55                                      // 0000000092DC: 7E0C0337
	s_mov_b64 s[60:61], 0                                      // 0000000092E0: BEBC0180
	v_readlane_b32 s82, v3, 14                                 // 0000000092E4: D2890052 00011D03
	s_and_b32 s82, s82, 0xffffff                               // 0000000092EC: 8652FF52 00FFFFFF
	s_cmp_lt_u32 s82, s66                                      // 0000000092F4: BF0A4252
	s_cselect_b32 s20, s36, s60                                // 0000000092F8: 85143C24
	v_readlane_b32 s82, v3, 15                                 // 0000000092FC: D2890052 00011F03
	s_and_b32 s82, s82, 0xffffff                               // 000000009304: 8652FF52 00FFFFFF
	s_cmp_lt_u32 s82, s66                                      // 00000000930C: BF0A4252
	s_cselect_b32 s21, s36, s60                                // 000000009310: 85153C24
	s_mov_b64 exec, s[20:21]                                   // 000000009314: BEFE0114
	global_atomic_add_f32 v6, v193, s[8:9]                     // 000000009318: DD348000 0008C106
	global_atomic_add_f32 v6, v197, s[8:9] offset:256          // 000000009320: DD348100 0008C506
	global_atomic_add_f32 v6, v201, s[8:9] offset:512          // 000000009328: DD348200 0008C906
	global_atomic_add_f32 v6, v205, s[8:9] offset:768          // 000000009330: DD348300 0008CD06
	s_mov_b64 exec, s[36:37]                                   // 000000009338: BEFE0124
	v_mov_b32_e32 v6, v56                                      // 00000000933C: 7E0C0338
	s_mov_b64 s[60:61], 0                                      // 000000009340: BEBC0180
	v_readlane_b32 s82, v3, 16                                 // 000000009344: D2890052 00012103
	s_and_b32 s82, s82, 0xffffff                               // 00000000934C: 8652FF52 00FFFFFF
	s_cmp_lt_u32 s82, s66                                      // 000000009354: BF0A4252
	s_cselect_b32 s20, s36, s60                                // 000000009358: 85143C24
	v_readlane_b32 s82, v3, 17                                 // 00000000935C: D2890052 00012303
	s_and_b32 s82, s82, 0xffffff                               // 000000009364: 8652FF52 00FFFFFF
	s_cmp_lt_u32 s82, s66                                      // 00000000936C: BF0A4252
	s_cselect_b32 s21, s36, s60                                // 000000009370: 85153C24
	s_mov_b64 exec, s[20:21]                                   // 000000009374: BEFE0114
	global_atomic_add_f32 v6, v208, s[8:9]                     // 000000009378: DD348000 0008D006
	global_atomic_add_f32 v6, v212, s[8:9] offset:256          // 000000009380: DD348100 0008D406
	global_atomic_add_f32 v6, v216, s[8:9] offset:512          // 000000009388: DD348200 0008D806
	global_atomic_add_f32 v6, v220, s[8:9] offset:768          // 000000009390: DD348300 0008DC06
	s_mov_b64 exec, s[36:37]                                   // 000000009398: BEFE0124
	v_mov_b32_e32 v6, v57                                      // 00000000939C: 7E0C0339
	s_mov_b64 s[60:61], 0                                      // 0000000093A0: BEBC0180
	v_readlane_b32 s82, v3, 18                                 // 0000000093A4: D2890052 00012503
	s_and_b32 s82, s82, 0xffffff                               // 0000000093AC: 8652FF52 00FFFFFF
	s_cmp_lt_u32 s82, s66                                      // 0000000093B4: BF0A4252
	s_cselect_b32 s20, s36, s60                                // 0000000093B8: 85143C24
	v_readlane_b32 s82, v3, 19                                 // 0000000093BC: D2890052 00012703
	s_and_b32 s82, s82, 0xffffff                               // 0000000093C4: 8652FF52 00FFFFFF
	s_cmp_lt_u32 s82, s66                                      // 0000000093CC: BF0A4252
	s_cselect_b32 s21, s36, s60                                // 0000000093D0: 85153C24
	s_mov_b64 exec, s[20:21]                                   // 0000000093D4: BEFE0114
	global_atomic_add_f32 v6, v209, s[8:9]                     // 0000000093D8: DD348000 0008D106
	global_atomic_add_f32 v6, v213, s[8:9] offset:256          // 0000000093E0: DD348100 0008D506
	global_atomic_add_f32 v6, v217, s[8:9] offset:512          // 0000000093E8: DD348200 0008D906
	global_atomic_add_f32 v6, v221, s[8:9] offset:768          // 0000000093F0: DD348300 0008DD06
	s_mov_b64 exec, s[36:37]                                   // 0000000093F8: BEFE0124
	ds_write_b64 v20, v[146:147]                               // 0000000093FC: D89A0000 00009214
	ds_write_b64 v20, v[150:151] offset:8704                   // 000000009404: D89A2200 00009614
	ds_write_b64 v20, v[154:155] offset:17408                  // 00000000940C: D89A4400 00009A14
	ds_write_b64 v20, v[158:159] offset:26112                  // 000000009414: D89A6600 00009E14
	ds_write_b64 v20, v[162:163] offset:34816                  // 00000000941C: D89A8800 0000A214
	ds_write_b64 v20, v[166:167] offset:2176                   // 000000009424: D89A0880 0000A614
	ds_write_b64 v20, v[170:171] offset:10880                  // 00000000942C: D89A2A80 0000AA14
	ds_write_b64 v20, v[174:175] offset:19584                  // 000000009434: D89A4C80 0000AE14
	ds_write_b64 v20, v[178:179] offset:28288                  // 00000000943C: D89A6E80 0000B214
	ds_write_b64 v20, v[182:183] offset:36992                  // 000000009444: D89A9080 0000B614
	ds_write_b64 v20, v[186:187] offset:4352                   // 00000000944C: D89A1100 0000BA14
	ds_write_b64 v20, v[190:191] offset:13056                  // 000000009454: D89A3300 0000BE14
	ds_write_b64 v20, v[194:195] offset:21760                  // 00000000945C: D89A5500 0000C214
	ds_write_b64 v20, v[198:199] offset:30464                  // 000000009464: D89A7700 0000C614
	ds_write_b64 v20, v[202:203] offset:39168                  // 00000000946C: D89A9900 0000CA14
	ds_write_b64 v20, v[206:207] offset:6528                   // 000000009474: D89A1980 0000CE14
	ds_write_b64 v20, v[210:211] offset:15232                  // 00000000947C: D89A3B80 0000D214
	ds_write_b64 v20, v[214:215] offset:23936                  // 000000009484: D89A5D80 0000D614
	ds_write_b64 v20, v[218:219] offset:32640                  // 00000000948C: D89A7F80 0000DA14
	ds_write_b64 v20, v[222:223] offset:41344                  // 000000009494: D89AA180 0000DE14
	s_waitcnt lgkmcnt(0)                                       // 00000000949C: BF8CC07F
	s_barrier                                                  // 0000000094A0: BF8A0000
	ds_read_b32 v146, v21                                      // 0000000094A4: D86C0000 92000015
	ds_read_b32 v147, v21 offset:64                            // 0000000094AC: D86C0040 93000015
	ds_read_b32 v150, v21 offset:2176                          // 0000000094B4: D86C0880 96000015
	ds_read_b32 v151, v21 offset:2240                          // 0000000094BC: D86C08C0 97000015
	ds_read_b32 v154, v21 offset:4352                          // 0000000094C4: D86C1100 9A000015
	ds_read_b32 v155, v21 offset:4416                          // 0000000094CC: D86C1140 9B000015
	ds_read_b32 v158, v21 offset:6528                          // 0000000094D4: D86C1980 9E000015
	ds_read_b32 v159, v21 offset:6592                          // 0000000094DC: D86C19C0 9F000015
	ds_read_b32 v162, v21 offset:8704                          // 0000000094E4: D86C2200 A2000015
	ds_read_b32 v163, v21 offset:8768                          // 0000000094EC: D86C2240 A3000015
	ds_read_b32 v166, v21 offset:10880                         // 0000000094F4: D86C2A80 A6000015
	ds_read_b32 v167, v21 offset:10944                         // 0000000094FC: D86C2AC0 A7000015
	ds_read_b32 v170, v21 offset:13056                         // 000000009504: D86C3300 AA000015
	ds_read_b32 v171, v21 offset:13120                         // 00000000950C: D86C3340 AB000015
	ds_read_b32 v174, v21 offset:15232                         // 000000009514: D86C3B80 AE000015
	ds_read_b32 v175, v21 offset:15296                         // 00000000951C: D86C3BC0 AF000015
	ds_read_b32 v178, v21 offset:17408                         // 000000009524: D86C4400 B2000015
	ds_read_b32 v179, v21 offset:17472                         // 00000000952C: D86C4440 B3000015
	ds_read_b32 v182, v21 offset:19584                         // 000000009534: D86C4C80 B6000015
	ds_read_b32 v183, v21 offset:19648                         // 00000000953C: D86C4CC0 B7000015
	ds_read_b32 v186, v21 offset:21760                         // 000000009544: D86C5500 BA000015
	ds_read_b32 v187, v21 offset:21824                         // 00000000954C: D86C5540 BB000015
	ds_read_b32 v190, v21 offset:23936                         // 000000009554: D86C5D80 BE000015
	ds_read_b32 v191, v21 offset:24000                         // 00000000955C: D86C5DC0 BF000015
	ds_read_b32 v194, v21 offset:26112                         // 000000009564: D86C6600 C2000015
	ds_read_b32 v195, v21 offset:26176                         // 00000000956C: D86C6640 C3000015
	ds_read_b32 v198, v21 offset:28288                         // 000000009574: D86C6E80 C6000015
	ds_read_b32 v199, v21 offset:28352                         // 00000000957C: D86C6EC0 C7000015
	ds_read_b32 v202, v21 offset:30464                         // 000000009584: D86C7700 CA000015
	ds_read_b32 v203, v21 offset:30528                         // 00000000958C: D86C7740 CB000015
	ds_read_b32 v206, v21 offset:32640                         // 000000009594: D86C7F80 CE000015
	ds_read_b32 v207, v21 offset:32704                         // 00000000959C: D86C7FC0 CF000015
	ds_read_b32 v210, v21 offset:34816                         // 0000000095A4: D86C8800 D2000015
	ds_read_b32 v211, v21 offset:34880                         // 0000000095AC: D86C8840 D3000015
	ds_read_b32 v214, v21 offset:36992                         // 0000000095B4: D86C9080 D6000015
	ds_read_b32 v215, v21 offset:37056                         // 0000000095BC: D86C90C0 D7000015
	ds_read_b32 v218, v21 offset:39168                         // 0000000095C4: D86C9900 DA000015
	ds_read_b32 v219, v21 offset:39232                         // 0000000095CC: D86C9940 DB000015
	ds_read_b32 v222, v21 offset:41344                         // 0000000095D4: D86CA180 DE000015
	ds_read_b32 v223, v21 offset:41408                         // 0000000095DC: D86CA1C0 DF000015
	s_waitcnt lgkmcnt(0)                                       // 0000000095E4: BF8CC07F
	v_mov_b32_e32 v7, 0                                        // 0000000095E8: 7E0E0280
	s_mov_b64 exec, s[36:37]                                   // 0000000095EC: BEFE0124
	v_mov_b32_e32 v6, v48                                      // 0000000095F0: 7E0C0330
	s_mov_b64 s[60:61], 0                                      // 0000000095F4: BEBC0180
	v_readlane_b32 s82, v3, 0                                  // 0000000095F8: D2890052 00010103
	s_and_b32 s82, s82, 0xffffff                               // 000000009600: 8652FF52 00FFFFFF
	s_cmp_lt_u32 s82, s66                                      // 000000009608: BF0A4252
	s_cselect_b32 s20, s36, s60                                // 00000000960C: 85143C24
	v_readlane_b32 s82, v3, 1                                  // 000000009610: D2890052 00010303
	s_and_b32 s82, s82, 0xffffff                               // 000000009618: 8652FF52 00FFFFFF
	s_cmp_lt_u32 s82, s66                                      // 000000009620: BF0A4252
	s_cselect_b32 s21, s36, s60                                // 000000009624: 85153C24
	s_mov_b64 exec, s[20:21]                                   // 000000009628: BEFE0114
	global_atomic_add_f32 v6, v146, s[8:9] offset:8            // 00000000962C: DD348008 00089206
	global_atomic_add_f32 v6, v150, s[8:9] offset:264          // 000000009634: DD348108 00089606
	global_atomic_add_f32 v6, v154, s[8:9] offset:520          // 00000000963C: DD348208 00089A06
	global_atomic_add_f32 v6, v158, s[8:9] offset:776          // 000000009644: DD348308 00089E06
	s_mov_b64 exec, s[36:37]                                   // 00000000964C: BEFE0124
	v_mov_b32_e32 v6, v49                                      // 000000009650: 7E0C0331
	s_mov_b64 s[60:61], 0                                      // 000000009654: BEBC0180
	v_readlane_b32 s82, v3, 2                                  // 000000009658: D2890052 00010503
	s_and_b32 s82, s82, 0xffffff                               // 000000009660: 8652FF52 00FFFFFF
	s_cmp_lt_u32 s82, s66                                      // 000000009668: BF0A4252
	s_cselect_b32 s20, s36, s60                                // 00000000966C: 85143C24
	v_readlane_b32 s82, v3, 3                                  // 000000009670: D2890052 00010703
	s_and_b32 s82, s82, 0xffffff                               // 000000009678: 8652FF52 00FFFFFF
	s_cmp_lt_u32 s82, s66                                      // 000000009680: BF0A4252
	s_cselect_b32 s21, s36, s60                                // 000000009684: 85153C24
	s_mov_b64 exec, s[20:21]                                   // 000000009688: BEFE0114
	global_atomic_add_f32 v6, v147, s[8:9] offset:8            // 00000000968C: DD348008 00089306
	global_atomic_add_f32 v6, v151, s[8:9] offset:264          // 000000009694: DD348108 00089706
	global_atomic_add_f32 v6, v155, s[8:9] offset:520          // 00000000969C: DD348208 00089B06
	global_atomic_add_f32 v6, v159, s[8:9] offset:776          // 0000000096A4: DD348308 00089F06
	s_mov_b64 exec, s[36:37]                                   // 0000000096AC: BEFE0124
	v_mov_b32_e32 v6, v50                                      // 0000000096B0: 7E0C0332
	s_mov_b64 s[60:61], 0                                      // 0000000096B4: BEBC0180
	v_readlane_b32 s82, v3, 4                                  // 0000000096B8: D2890052 00010903
	s_and_b32 s82, s82, 0xffffff                               // 0000000096C0: 8652FF52 00FFFFFF
	s_cmp_lt_u32 s82, s66                                      // 0000000096C8: BF0A4252
	s_cselect_b32 s20, s36, s60                                // 0000000096CC: 85143C24
	v_readlane_b32 s82, v3, 5                                  // 0000000096D0: D2890052 00010B03
	s_and_b32 s82, s82, 0xffffff                               // 0000000096D8: 8652FF52 00FFFFFF
	s_cmp_lt_u32 s82, s66                                      // 0000000096E0: BF0A4252
	s_cselect_b32 s21, s36, s60                                // 0000000096E4: 85153C24
	s_mov_b64 exec, s[20:21]                                   // 0000000096E8: BEFE0114
	global_atomic_add_f32 v6, v162, s[8:9] offset:8            // 0000000096EC: DD348008 0008A206
	global_atomic_add_f32 v6, v166, s[8:9] offset:264          // 0000000096F4: DD348108 0008A606
	global_atomic_add_f32 v6, v170, s[8:9] offset:520          // 0000000096FC: DD348208 0008AA06
	global_atomic_add_f32 v6, v174, s[8:9] offset:776          // 000000009704: DD348308 0008AE06
	s_mov_b64 exec, s[36:37]                                   // 00000000970C: BEFE0124
	v_mov_b32_e32 v6, v51                                      // 000000009710: 7E0C0333
	s_mov_b64 s[60:61], 0                                      // 000000009714: BEBC0180
	v_readlane_b32 s82, v3, 6                                  // 000000009718: D2890052 00010D03
	s_and_b32 s82, s82, 0xffffff                               // 000000009720: 8652FF52 00FFFFFF
	s_cmp_lt_u32 s82, s66                                      // 000000009728: BF0A4252
	s_cselect_b32 s20, s36, s60                                // 00000000972C: 85143C24
	v_readlane_b32 s82, v3, 7                                  // 000000009730: D2890052 00010F03
	s_and_b32 s82, s82, 0xffffff                               // 000000009738: 8652FF52 00FFFFFF
	s_cmp_lt_u32 s82, s66                                      // 000000009740: BF0A4252
	s_cselect_b32 s21, s36, s60                                // 000000009744: 85153C24
	s_mov_b64 exec, s[20:21]                                   // 000000009748: BEFE0114
	global_atomic_add_f32 v6, v163, s[8:9] offset:8            // 00000000974C: DD348008 0008A306
	global_atomic_add_f32 v6, v167, s[8:9] offset:264          // 000000009754: DD348108 0008A706
	global_atomic_add_f32 v6, v171, s[8:9] offset:520          // 00000000975C: DD348208 0008AB06
	global_atomic_add_f32 v6, v175, s[8:9] offset:776          // 000000009764: DD348308 0008AF06
	s_mov_b64 exec, s[36:37]                                   // 00000000976C: BEFE0124
	v_mov_b32_e32 v6, v52                                      // 000000009770: 7E0C0334
	s_mov_b64 s[60:61], 0                                      // 000000009774: BEBC0180
	v_readlane_b32 s82, v3, 8                                  // 000000009778: D2890052 00011103
	s_and_b32 s82, s82, 0xffffff                               // 000000009780: 8652FF52 00FFFFFF
	s_cmp_lt_u32 s82, s66                                      // 000000009788: BF0A4252
	s_cselect_b32 s20, s36, s60                                // 00000000978C: 85143C24
	v_readlane_b32 s82, v3, 9                                  // 000000009790: D2890052 00011303
	s_and_b32 s82, s82, 0xffffff                               // 000000009798: 8652FF52 00FFFFFF
	s_cmp_lt_u32 s82, s66                                      // 0000000097A0: BF0A4252
	s_cselect_b32 s21, s36, s60                                // 0000000097A4: 85153C24
	s_mov_b64 exec, s[20:21]                                   // 0000000097A8: BEFE0114
	global_atomic_add_f32 v6, v178, s[8:9] offset:8            // 0000000097AC: DD348008 0008B206
	global_atomic_add_f32 v6, v182, s[8:9] offset:264          // 0000000097B4: DD348108 0008B606
	global_atomic_add_f32 v6, v186, s[8:9] offset:520          // 0000000097BC: DD348208 0008BA06
	global_atomic_add_f32 v6, v190, s[8:9] offset:776          // 0000000097C4: DD348308 0008BE06
	s_mov_b64 exec, s[36:37]                                   // 0000000097CC: BEFE0124
	v_mov_b32_e32 v6, v53                                      // 0000000097D0: 7E0C0335
	s_mov_b64 s[60:61], 0                                      // 0000000097D4: BEBC0180
	v_readlane_b32 s82, v3, 10                                 // 0000000097D8: D2890052 00011503
	s_and_b32 s82, s82, 0xffffff                               // 0000000097E0: 8652FF52 00FFFFFF
	s_cmp_lt_u32 s82, s66                                      // 0000000097E8: BF0A4252
	s_cselect_b32 s20, s36, s60                                // 0000000097EC: 85143C24
	v_readlane_b32 s82, v3, 11                                 // 0000000097F0: D2890052 00011703
	s_and_b32 s82, s82, 0xffffff                               // 0000000097F8: 8652FF52 00FFFFFF
	s_cmp_lt_u32 s82, s66                                      // 000000009800: BF0A4252
	s_cselect_b32 s21, s36, s60                                // 000000009804: 85153C24
	s_mov_b64 exec, s[20:21]                                   // 000000009808: BEFE0114
	global_atomic_add_f32 v6, v179, s[8:9] offset:8            // 00000000980C: DD348008 0008B306
	global_atomic_add_f32 v6, v183, s[8:9] offset:264          // 000000009814: DD348108 0008B706
	global_atomic_add_f32 v6, v187, s[8:9] offset:520          // 00000000981C: DD348208 0008BB06
	global_atomic_add_f32 v6, v191, s[8:9] offset:776          // 000000009824: DD348308 0008BF06
	s_mov_b64 exec, s[36:37]                                   // 00000000982C: BEFE0124
	v_mov_b32_e32 v6, v54                                      // 000000009830: 7E0C0336
	s_mov_b64 s[60:61], 0                                      // 000000009834: BEBC0180
	v_readlane_b32 s82, v3, 12                                 // 000000009838: D2890052 00011903
	s_and_b32 s82, s82, 0xffffff                               // 000000009840: 8652FF52 00FFFFFF
	s_cmp_lt_u32 s82, s66                                      // 000000009848: BF0A4252
	s_cselect_b32 s20, s36, s60                                // 00000000984C: 85143C24
	v_readlane_b32 s82, v3, 13                                 // 000000009850: D2890052 00011B03
	s_and_b32 s82, s82, 0xffffff                               // 000000009858: 8652FF52 00FFFFFF
	s_cmp_lt_u32 s82, s66                                      // 000000009860: BF0A4252
	s_cselect_b32 s21, s36, s60                                // 000000009864: 85153C24
	s_mov_b64 exec, s[20:21]                                   // 000000009868: BEFE0114
	global_atomic_add_f32 v6, v194, s[8:9] offset:8            // 00000000986C: DD348008 0008C206
	global_atomic_add_f32 v6, v198, s[8:9] offset:264          // 000000009874: DD348108 0008C606
	global_atomic_add_f32 v6, v202, s[8:9] offset:520          // 00000000987C: DD348208 0008CA06
	global_atomic_add_f32 v6, v206, s[8:9] offset:776          // 000000009884: DD348308 0008CE06
	s_mov_b64 exec, s[36:37]                                   // 00000000988C: BEFE0124
	v_mov_b32_e32 v6, v55                                      // 000000009890: 7E0C0337
	s_mov_b64 s[60:61], 0                                      // 000000009894: BEBC0180
	v_readlane_b32 s82, v3, 14                                 // 000000009898: D2890052 00011D03
	s_and_b32 s82, s82, 0xffffff                               // 0000000098A0: 8652FF52 00FFFFFF
	s_cmp_lt_u32 s82, s66                                      // 0000000098A8: BF0A4252
	s_cselect_b32 s20, s36, s60                                // 0000000098AC: 85143C24
	v_readlane_b32 s82, v3, 15                                 // 0000000098B0: D2890052 00011F03
	s_and_b32 s82, s82, 0xffffff                               // 0000000098B8: 8652FF52 00FFFFFF
	s_cmp_lt_u32 s82, s66                                      // 0000000098C0: BF0A4252
	s_cselect_b32 s21, s36, s60                                // 0000000098C4: 85153C24
	s_mov_b64 exec, s[20:21]                                   // 0000000098C8: BEFE0114
	global_atomic_add_f32 v6, v195, s[8:9] offset:8            // 0000000098CC: DD348008 0008C306
	global_atomic_add_f32 v6, v199, s[8:9] offset:264          // 0000000098D4: DD348108 0008C706
	global_atomic_add_f32 v6, v203, s[8:9] offset:520          // 0000000098DC: DD348208 0008CB06
	global_atomic_add_f32 v6, v207, s[8:9] offset:776          // 0000000098E4: DD348308 0008CF06
	s_mov_b64 exec, s[36:37]                                   // 0000000098EC: BEFE0124
	v_mov_b32_e32 v6, v56                                      // 0000000098F0: 7E0C0338
	s_mov_b64 s[60:61], 0                                      // 0000000098F4: BEBC0180
	v_readlane_b32 s82, v3, 16                                 // 0000000098F8: D2890052 00012103
	s_and_b32 s82, s82, 0xffffff                               // 000000009900: 8652FF52 00FFFFFF
	s_cmp_lt_u32 s82, s66                                      // 000000009908: BF0A4252
	s_cselect_b32 s20, s36, s60                                // 00000000990C: 85143C24
	v_readlane_b32 s82, v3, 17                                 // 000000009910: D2890052 00012303
	s_and_b32 s82, s82, 0xffffff                               // 000000009918: 8652FF52 00FFFFFF
	s_cmp_lt_u32 s82, s66                                      // 000000009920: BF0A4252
	s_cselect_b32 s21, s36, s60                                // 000000009924: 85153C24
	s_mov_b64 exec, s[20:21]                                   // 000000009928: BEFE0114
	global_atomic_add_f32 v6, v210, s[8:9] offset:8            // 00000000992C: DD348008 0008D206
	global_atomic_add_f32 v6, v214, s[8:9] offset:264          // 000000009934: DD348108 0008D606
	global_atomic_add_f32 v6, v218, s[8:9] offset:520          // 00000000993C: DD348208 0008DA06
	global_atomic_add_f32 v6, v222, s[8:9] offset:776          // 000000009944: DD348308 0008DE06
	s_mov_b64 exec, s[36:37]                                   // 00000000994C: BEFE0124
	v_mov_b32_e32 v6, v57                                      // 000000009950: 7E0C0339
	s_mov_b64 s[60:61], 0                                      // 000000009954: BEBC0180
	v_readlane_b32 s82, v3, 18                                 // 000000009958: D2890052 00012503
	s_and_b32 s82, s82, 0xffffff                               // 000000009960: 8652FF52 00FFFFFF
	s_cmp_lt_u32 s82, s66                                      // 000000009968: BF0A4252
	s_cselect_b32 s20, s36, s60                                // 00000000996C: 85143C24
	v_readlane_b32 s82, v3, 19                                 // 000000009970: D2890052 00012703
	s_and_b32 s82, s82, 0xffffff                               // 000000009978: 8652FF52 00FFFFFF
	s_cmp_lt_u32 s82, s66                                      // 000000009980: BF0A4252
	s_cselect_b32 s21, s36, s60                                // 000000009984: 85153C24
	s_mov_b64 exec, s[20:21]                                   // 000000009988: BEFE0114
	global_atomic_add_f32 v6, v211, s[8:9] offset:8            // 00000000998C: DD348008 0008D306
	global_atomic_add_f32 v6, v215, s[8:9] offset:264          // 000000009994: DD348108 0008D706
	global_atomic_add_f32 v6, v219, s[8:9] offset:520          // 00000000999C: DD348208 0008DB06
	global_atomic_add_f32 v6, v223, s[8:9] offset:776          // 0000000099A4: DD348308 0008DF06
	s_mov_b64 exec, s[36:37]                                   // 0000000099AC: BEFE0124
	s_branch label_34C4                                        // 0000000099B0: BF8218D4

00000000000099b4 <label_1BF0>:
	s_waitcnt vmcnt(6) lgkmcnt(0)                              // 0000000099B4: BF8C0076
	s_barrier                                                  // 0000000099B8: BF8A0000
	v_mov_b32_e32 v43, v33                                     // 0000000099BC: 7E560321
	v_mov_b32_e32 v44, v34                                     // 0000000099C0: 7E580322
	v_mov_b32_e32 v45, v35                                     // 0000000099C4: 7E5A0323
	v_mov_b32_e32 v46, v36                                     // 0000000099C8: 7E5C0324
	v_mov_b32_e32 v47, v37                                     // 0000000099CC: 7E5E0325
	v_mul_f32_dpp v4, v24, v43 row_newbcast:0 row_mask:0xf bank_mask:0xf// 0000000099D0: 0A0856FA FF015018
	v_mfma_f32_16x16x32_fp8_fp8 v[8:11], a[80:81], a[0:1], 0   // 0000000099D8: D3F30008 1A020150
	buffer_load_dword v27, v23, s[32:35], 0 offen              // 0000000099E0: E0501000 80081B17
	buffer_load_dwordx4 a[112:115], v58, s[84:87], 0 offen     // 0000000099E8: E05C1000 8095703A
	v_mfma_f32_16x16x32_fp8_fp8 v[8:11], a[82:83], a[2:3], v[8:11]// 0000000099F0: D3F30008 1C220552
	v_mfma_f32_16x16x32_fp8_fp8 v[8:11], a[84:85], a[4:5], v[8:11]// 0000000099F8: D3F30008 1C220954
	v_mfma_f32_16x16x32_fp8_fp8 v[8:11], a[86:87], a[6:7], v[8:11]// 000000009A00: D3F30008 1C220D56
	v_mul_f32_dpp v6, v24, v44 row_newbcast:0 row_mask:0xf bank_mask:0xf// 000000009A08: 0A0C58FA FF015018
	v_mfma_f32_16x16x32_fp8_fp8 v[12:15], a[80:81], a[8:9], 0  // 000000009A10: D3F3000C 1A021150
	buffer_load_dwordx4 a[116:119], v58, s[84:87], 0 offen offset:1024// 000000009A18: E05C1400 8095743A
	v_mfma_f32_16x16x32_fp8_fp8 v[12:15], a[82:83], a[10:11], v[12:15]// 000000009A20: D3F3000C 1C321552
	v_mfma_f32_16x16x32_fp8_fp8 v[12:15], a[84:85], a[12:13], v[12:15]// 000000009A28: D3F3000C 1C321954
	v_mfma_f32_16x16x32_fp8_fp8 v[12:15], a[86:87], a[14:15], v[12:15]// 000000009A30: D3F3000C 1C321D56
	v_fma_f32 v64, v8, v4, v64                                 // 000000009A38: D1CB0040 05020908
	v_fma_f32 v65, v9, v4, v65                                 // 000000009A40: D1CB0041 05060909
	v_fma_f32 v66, v10, v4, v66                                // 000000009A48: D1CB0042 050A090A
	v_fma_f32 v67, v11, v4, v67                                // 000000009A50: D1CB0043 050E090B
	v_mul_f32_dpp v4, v24, v45 row_newbcast:0 row_mask:0xf bank_mask:0xf// 000000009A58: 0A085AFA FF015018
	v_mfma_f32_16x16x32_fp8_fp8 v[8:11], a[80:81], a[16:17], 0 // 000000009A60: D3F30008 1A022150
	buffer_load_dwordx4 a[120:123], v59, s[84:87], 0 offen     // 000000009A68: E05C1000 8095783B
	v_mfma_f32_16x16x32_fp8_fp8 v[8:11], a[82:83], a[18:19], v[8:11]// 000000009A70: D3F30008 1C222552
	v_mfma_f32_16x16x32_fp8_fp8 v[8:11], a[84:85], a[20:21], v[8:11]// 000000009A78: D3F30008 1C222954
	v_mfma_f32_16x16x32_fp8_fp8 v[8:11], a[86:87], a[22:23], v[8:11]// 000000009A80: D3F30008 1C222D56
	v_fma_f32 v68, v12, v6, v68                                // 000000009A88: D1CB0044 05120D0C
	v_fma_f32 v69, v13, v6, v69                                // 000000009A90: D1CB0045 05160D0D
	v_fma_f32 v70, v14, v6, v70                                // 000000009A98: D1CB0046 051A0D0E
	v_fma_f32 v71, v15, v6, v71                                // 000000009AA0: D1CB0047 051E0D0F
	v_mul_f32_dpp v6, v24, v46 row_newbcast:0 row_mask:0xf bank_mask:0xf// 000000009AA8: 0A0C5CFA FF015018
	v_mfma_f32_16x16x32_fp8_fp8 v[12:15], a[80:81], a[24:25], 0// 000000009AB0: D3F3000C 1A023150
	buffer_load_dwordx4 a[124:127], v59, s[84:87], 0 offen offset:1024// 000000009AB8: E05C1400 80957C3B
	v_mfma_f32_16x16x32_fp8_fp8 v[12:15], a[82:83], a[26:27], v[12:15]// 000000009AC0: D3F3000C 1C323552
	v_mfma_f32_16x16x32_fp8_fp8 v[12:15], a[84:85], a[28:29], v[12:15]// 000000009AC8: D3F3000C 1C323954
	v_mfma_f32_16x16x32_fp8_fp8 v[12:15], a[86:87], a[30:31], v[12:15]// 000000009AD0: D3F3000C 1C323D56
	v_fma_f32 v72, v8, v4, v72                                 // 000000009AD8: D1CB0048 05220908
	v_fma_f32 v73, v9, v4, v73                                 // 000000009AE0: D1CB0049 05260909
	v_fma_f32 v74, v10, v4, v74                                // 000000009AE8: D1CB004A 052A090A
	v_fma_f32 v75, v11, v4, v75                                // 000000009AF0: D1CB004B 052E090B
	v_mul_f32_dpp v4, v24, v47 row_newbcast:0 row_mask:0xf bank_mask:0xf// 000000009AF8: 0A085EFA FF015018
	v_mfma_f32_16x16x32_fp8_fp8 v[8:11], a[80:81], a[32:33], 0 // 000000009B00: D3F30008 1A024150
	buffer_load_dwordx4 a[128:131], v60, s[84:87], 0 offen     // 000000009B08: E05C1000 8095803C
	v_mfma_f32_16x16x32_fp8_fp8 v[8:11], a[82:83], a[34:35], v[8:11]// 000000009B10: D3F30008 1C224552
	v_mfma_f32_16x16x32_fp8_fp8 v[8:11], a[84:85], a[36:37], v[8:11]// 000000009B18: D3F30008 1C224954
	v_mfma_f32_16x16x32_fp8_fp8 v[8:11], a[86:87], a[38:39], v[8:11]// 000000009B20: D3F30008 1C224D56
	v_fma_f32 v76, v12, v6, v76                                // 000000009B28: D1CB004C 05320D0C
	v_fma_f32 v77, v13, v6, v77                                // 000000009B30: D1CB004D 05360D0D
	v_fma_f32 v78, v14, v6, v78                                // 000000009B38: D1CB004E 053A0D0E
	v_fma_f32 v79, v15, v6, v79                                // 000000009B40: D1CB004F 053E0D0F
	s_waitcnt vmcnt(10)                                        // 000000009B48: BF8C0F7A
	v_mul_f32_dpp v6, v24, v43 row_newbcast:0 row_mask:0xf bank_mask:0xf// 000000009B4C: 0A0C56FA FF015018
	v_mfma_f32_16x16x32_fp8_fp8 v[12:15], a[88:89], a[0:1], 0  // 000000009B54: D3F3000C 1A020158
	buffer_load_dwordx4 a[132:135], v60, s[84:87], 0 offen offset:1024// 000000009B5C: E05C1400 8095843C
	v_mfma_f32_16x16x32_fp8_fp8 v[12:15], a[90:91], a[2:3], v[12:15]// 000000009B64: D3F3000C 1C32055A
	v_mfma_f32_16x16x32_fp8_fp8 v[12:15], a[92:93], a[4:5], v[12:15]// 000000009B6C: D3F3000C 1C32095C
	v_mfma_f32_16x16x32_fp8_fp8 v[12:15], a[94:95], a[6:7], v[12:15]// 000000009B74: D3F3000C 1C320D5E
	v_fma_f32 v80, v8, v4, v80                                 // 000000009B7C: D1CB0050 05420908
	v_fma_f32 v81, v9, v4, v81                                 // 000000009B84: D1CB0051 05460909
	v_fma_f32 v82, v10, v4, v82                                // 000000009B8C: D1CB0052 054A090A
	v_fma_f32 v83, v11, v4, v83                                // 000000009B94: D1CB0053 054E090B
	v_mul_f32_dpp v4, v24, v44 row_newbcast:0 row_mask:0xf bank_mask:0xf// 000000009B9C: 0A0858FA FF015018
	v_mfma_f32_16x16x32_fp8_fp8 v[8:11], a[88:89], a[8:9], 0   // 000000009BA4: D3F30008 1A021158
	buffer_load_dwordx4 a[136:139], v61, s[84:87], 0 offen     // 000000009BAC: E05C1000 8095883D
	v_mfma_f32_16x16x32_fp8_fp8 v[8:11], a[90:91], a[10:11], v[8:11]// 000000009BB4: D3F30008 1C22155A
	v_mfma_f32_16x16x32_fp8_fp8 v[8:11], a[92:93], a[12:13], v[8:11]// 000000009BBC: D3F30008 1C22195C
	v_mfma_f32_16x16x32_fp8_fp8 v[8:11], a[94:95], a[14:15], v[8:11]// 000000009BC4: D3F30008 1C221D5E
	v_fma_f32 v84, v12, v6, v84                                // 000000009BCC: D1CB0054 05520D0C
	v_fma_f32 v85, v13, v6, v85                                // 000000009BD4: D1CB0055 05560D0D
	v_fma_f32 v86, v14, v6, v86                                // 000000009BDC: D1CB0056 055A0D0E
	v_fma_f32 v87, v15, v6, v87                                // 000000009BE4: D1CB0057 055E0D0F
	v_mul_f32_dpp v6, v24, v45 row_newbcast:0 row_mask:0xf bank_mask:0xf// 000000009BEC: 0A0C5AFA FF015018
	v_mfma_f32_16x16x32_fp8_fp8 v[12:15], a[88:89], a[16:17], 0// 000000009BF4: D3F3000C 1A022158
	buffer_load_dwordx4 a[140:143], v61, s[84:87], 0 offen offset:1024// 000000009BFC: E05C1400 80958C3D
	buffer_load_dword v48, s[20:23], 0 offen lds               // 000000009C04: E0511000 80050030
	s_add_u32 m0, 0x100, s48                                   // 000000009C0C: 807C30FF 00000100
	v_mfma_f32_16x16x32_fp8_fp8 v[12:15], a[90:91], a[18:19], v[12:15]// 000000009C14: D3F3000C 1C32255A
	v_mfma_f32_16x16x32_fp8_fp8 v[12:15], a[92:93], a[20:21], v[12:15]// 000000009C1C: D3F3000C 1C32295C
	buffer_load_dword v49, s[20:23], 0 offen lds               // 000000009C24: E0511000 80050031
	s_add_u32 m0, 0x200, s48                                   // 000000009C2C: 807C30FF 00000200
	v_mfma_f32_16x16x32_fp8_fp8 v[12:15], a[94:95], a[22:23], v[12:15]// 000000009C34: D3F3000C 1C322D5E
	v_fma_f32 v88, v8, v4, v88                                 // 000000009C3C: D1CB0058 05620908
	v_fma_f32 v89, v9, v4, v89                                 // 000000009C44: D1CB0059 05660909
	v_fma_f32 v90, v10, v4, v90                                // 000000009C4C: D1CB005A 056A090A
	v_fma_f32 v91, v11, v4, v91                                // 000000009C54: D1CB005B 056E090B
	v_mul_f32_dpp v4, v24, v46 row_newbcast:0 row_mask:0xf bank_mask:0xf// 000000009C5C: 0A085CFA FF015018
	v_mfma_f32_16x16x32_fp8_fp8 v[8:11], a[88:89], a[24:25], 0 // 000000009C64: D3F30008 1A023158
	buffer_load_dword v50, s[20:23], 0 offen lds               // 000000009C6C: E0511000 80050032
	s_add_u32 m0, 0x300, s48                                   // 000000009C74: 807C30FF 00000300
	v_mfma_f32_16x16x32_fp8_fp8 v[8:11], a[90:91], a[26:27], v[8:11]// 000000009C7C: D3F30008 1C22355A
	v_mfma_f32_16x16x32_fp8_fp8 v[8:11], a[92:93], a[28:29], v[8:11]// 000000009C84: D3F30008 1C22395C
	buffer_load_dword v51, s[20:23], 0 offen lds               // 000000009C8C: E0511000 80050033
	s_add_u32 m0, 0x400, s48                                   // 000000009C94: 807C30FF 00000400
	v_mfma_f32_16x16x32_fp8_fp8 v[8:11], a[94:95], a[30:31], v[8:11]// 000000009C9C: D3F30008 1C223D5E
	v_fma_f32 v92, v12, v6, v92                                // 000000009CA4: D1CB005C 05720D0C
	v_fma_f32 v93, v13, v6, v93                                // 000000009CAC: D1CB005D 05760D0D
	v_fma_f32 v94, v14, v6, v94                                // 000000009CB4: D1CB005E 057A0D0E
	v_fma_f32 v95, v15, v6, v95                                // 000000009CBC: D1CB005F 057E0D0F
	v_mul_f32_dpp v6, v24, v47 row_newbcast:0 row_mask:0xf bank_mask:0xf// 000000009CC4: 0A0C5EFA FF015018
	v_mfma_f32_16x16x32_fp8_fp8 v[12:15], a[88:89], a[32:33], 0// 000000009CCC: D3F3000C 1A024158
	buffer_load_dword v52, s[20:23], 0 offen lds               // 000000009CD4: E0511000 80050034
	s_add_u32 m0, 0x500, s48                                   // 000000009CDC: 807C30FF 00000500
	v_mfma_f32_16x16x32_fp8_fp8 v[12:15], a[90:91], a[34:35], v[12:15]// 000000009CE4: D3F3000C 1C32455A
	v_mfma_f32_16x16x32_fp8_fp8 v[12:15], a[92:93], a[36:37], v[12:15]// 000000009CEC: D3F3000C 1C32495C
	buffer_load_dword v53, s[20:23], 0 offen lds               // 000000009CF4: E0511000 80050035
	s_add_u32 m0, 0x600, s48                                   // 000000009CFC: 807C30FF 00000600
	v_mfma_f32_16x16x32_fp8_fp8 v[12:15], a[94:95], a[38:39], v[12:15]// 000000009D04: D3F3000C 1C324D5E
	v_fma_f32 v96, v8, v4, v96                                 // 000000009D0C: D1CB0060 05820908
	v_fma_f32 v97, v9, v4, v97                                 // 000000009D14: D1CB0061 05860909
	v_fma_f32 v98, v10, v4, v98                                // 000000009D1C: D1CB0062 058A090A
	v_fma_f32 v99, v11, v4, v99                                // 000000009D24: D1CB0063 058E090B
	s_waitcnt vmcnt(17)                                        // 000000009D2C: BF8C4F71
	v_mul_f32_dpp v4, v24, v43 row_newbcast:1 row_mask:0xf bank_mask:0xf// 000000009D30: 0A0856FA FF015118
	v_mfma_f32_16x16x32_fp8_fp8 v[8:11], a[96:97], a[0:1], 0   // 000000009D38: D3F30008 1A020160
	buffer_load_dword v54, s[20:23], 0 offen lds               // 000000009D40: E0511000 80050036
	s_add_u32 m0, 0x700, s48                                   // 000000009D48: 807C30FF 00000700
	v_mfma_f32_16x16x32_fp8_fp8 v[8:11], a[98:99], a[2:3], v[8:11]// 000000009D50: D3F30008 1C220562
	v_mfma_f32_16x16x32_fp8_fp8 v[8:11], a[100:101], a[4:5], v[8:11]// 000000009D58: D3F30008 1C220964
	buffer_load_dword v55, s[20:23], 0 offen lds               // 000000009D60: E0511000 80050037
	s_add_u32 m0, 0x800, s48                                   // 000000009D68: 807C30FF 00000800
	v_mfma_f32_16x16x32_fp8_fp8 v[8:11], a[102:103], a[6:7], v[8:11]// 000000009D70: D3F30008 1C220D66
	v_fma_f32 v100, v12, v6, v100                              // 000000009D78: D1CB0064 05920D0C
	v_fma_f32 v101, v13, v6, v101                              // 000000009D80: D1CB0065 05960D0D
	v_fma_f32 v102, v14, v6, v102                              // 000000009D88: D1CB0066 059A0D0E
	v_fma_f32 v103, v15, v6, v103                              // 000000009D90: D1CB0067 059E0D0F
	v_mul_f32_dpp v6, v24, v44 row_newbcast:1 row_mask:0xf bank_mask:0xf// 000000009D98: 0A0C58FA FF015118
	v_mfma_f32_16x16x32_fp8_fp8 v[12:15], a[96:97], a[8:9], 0  // 000000009DA0: D3F3000C 1A021160
	buffer_load_dword v56, s[20:23], 0 offen lds               // 000000009DA8: E0511000 80050038
	s_add_u32 m0, 0x900, s48                                   // 000000009DB0: 807C30FF 00000900
	v_mfma_f32_16x16x32_fp8_fp8 v[12:15], a[98:99], a[10:11], v[12:15]// 000000009DB8: D3F3000C 1C321562
	v_mfma_f32_16x16x32_fp8_fp8 v[12:15], a[100:101], a[12:13], v[12:15]// 000000009DC0: D3F3000C 1C321964
	buffer_load_dword v57, s[20:23], 0 offen lds               // 000000009DC8: E0511000 80050039
	s_add_u32 m0, 0, s49                                       // 000000009DD0: 807C3180
	v_mfma_f32_16x16x32_fp8_fp8 v[12:15], a[102:103], a[14:15], v[12:15]// 000000009DD4: D3F3000C 1C321D66
	v_fma_f32 v104, v8, v4, v104                               // 000000009DDC: D1CB0068 05A20908
	v_fma_f32 v105, v9, v4, v105                               // 000000009DE4: D1CB0069 05A60909
	v_fma_f32 v106, v10, v4, v106                              // 000000009DEC: D1CB006A 05AA090A
	v_fma_f32 v107, v11, v4, v107                              // 000000009DF4: D1CB006B 05AE090B
	v_mul_f32_dpp v4, v24, v45 row_newbcast:1 row_mask:0xf bank_mask:0xf// 000000009DFC: 0A085AFA FF015118
	v_mfma_f32_16x16x32_fp8_fp8 v[8:11], a[96:97], a[16:17], 0 // 000000009E04: D3F30008 1A022160
	buffer_load_dword v33, v28, s[28:31], 0 offen              // 000000009E0C: E0501000 8007211C
	v_mfma_f32_16x16x32_fp8_fp8 v[8:11], a[98:99], a[18:19], v[8:11]// 000000009E14: D3F30008 1C222562
	v_mfma_f32_16x16x32_fp8_fp8 v[8:11], a[100:101], a[20:21], v[8:11]// 000000009E1C: D3F30008 1C222964
	buffer_load_dword v34, v29, s[28:31], 0 offen              // 000000009E24: E0501000 8007221D
	v_mfma_f32_16x16x32_fp8_fp8 v[8:11], a[102:103], a[22:23], v[8:11]// 000000009E2C: D3F30008 1C222D66
	v_fma_f32 v108, v12, v6, v108                              // 000000009E34: D1CB006C 05B20D0C
	v_fma_f32 v109, v13, v6, v109                              // 000000009E3C: D1CB006D 05B60D0D
	v_fma_f32 v110, v14, v6, v110                              // 000000009E44: D1CB006E 05BA0D0E
	v_fma_f32 v111, v15, v6, v111                              // 000000009E4C: D1CB006F 05BE0D0F
	v_mul_f32_dpp v6, v24, v46 row_newbcast:1 row_mask:0xf bank_mask:0xf// 000000009E54: 0A0C5CFA FF015118
	v_mfma_f32_16x16x32_fp8_fp8 v[12:15], a[96:97], a[24:25], 0// 000000009E5C: D3F3000C 1A023160
	buffer_load_dword v35, v30, s[28:31], 0 offen              // 000000009E64: E0501000 8007231E
	v_mfma_f32_16x16x32_fp8_fp8 v[12:15], a[98:99], a[26:27], v[12:15]// 000000009E6C: D3F3000C 1C323562
	v_mfma_f32_16x16x32_fp8_fp8 v[12:15], a[100:101], a[28:29], v[12:15]// 000000009E74: D3F3000C 1C323964
	buffer_load_dword v36, v31, s[28:31], 0 offen              // 000000009E7C: E0501000 8007241F
	v_mfma_f32_16x16x32_fp8_fp8 v[12:15], a[102:103], a[30:31], v[12:15]// 000000009E84: D3F3000C 1C323D66
	v_fma_f32 v112, v8, v4, v112                               // 000000009E8C: D1CB0070 05C20908
	v_fma_f32 v113, v9, v4, v113                               // 000000009E94: D1CB0071 05C60909
	v_fma_f32 v114, v10, v4, v114                              // 000000009E9C: D1CB0072 05CA090A
	v_fma_f32 v115, v11, v4, v115                              // 000000009EA4: D1CB0073 05CE090B
	v_mul_f32_dpp v4, v24, v47 row_newbcast:1 row_mask:0xf bank_mask:0xf// 000000009EAC: 0A085EFA FF015118
	v_mfma_f32_16x16x32_fp8_fp8 v[8:11], a[96:97], a[32:33], 0 // 000000009EB4: D3F30008 1A024160
	buffer_load_dword v37, v32, s[28:31], 0 offen              // 000000009EBC: E0501000 80072520
	v_mfma_f32_16x16x32_fp8_fp8 v[8:11], a[98:99], a[34:35], v[8:11]// 000000009EC4: D3F30008 1C224562
	v_mfma_f32_16x16x32_fp8_fp8 v[8:11], a[100:101], a[36:37], v[8:11]// 000000009ECC: D3F30008 1C224964
	v_mfma_f32_16x16x32_fp8_fp8 v[8:11], a[102:103], a[38:39], v[8:11]// 000000009ED4: D3F30008 1C224D66
	v_fma_f32 v116, v12, v6, v116                              // 000000009EDC: D1CB0074 05D20D0C
	v_fma_f32 v117, v13, v6, v117                              // 000000009EE4: D1CB0075 05D60D0D
	v_fma_f32 v118, v14, v6, v118                              // 000000009EEC: D1CB0076 05DA0D0E
	v_fma_f32 v119, v15, v6, v119                              // 000000009EF4: D1CB0077 05DE0D0F
	s_waitcnt vmcnt(24)                                        // 000000009EFC: BF8C4F78
	v_mul_f32_dpp v6, v24, v43 row_newbcast:1 row_mask:0xf bank_mask:0xf// 000000009F00: 0A0C56FA FF015118
	v_mfma_f32_16x16x32_fp8_fp8 v[12:15], a[104:105], a[0:1], 0// 000000009F08: D3F3000C 1A020168
	v_mfma_f32_16x16x32_fp8_fp8 v[12:15], a[106:107], a[2:3], v[12:15]// 000000009F10: D3F3000C 1C32056A
	v_mfma_f32_16x16x32_fp8_fp8 v[12:15], a[108:109], a[4:5], v[12:15]// 000000009F18: D3F3000C 1C32096C
	v_mfma_f32_16x16x32_fp8_fp8 v[12:15], a[110:111], a[6:7], v[12:15]// 000000009F20: D3F3000C 1C320D6E
	v_fma_f32 v120, v8, v4, v120                               // 000000009F28: D1CB0078 05E20908
	v_fma_f32 v121, v9, v4, v121                               // 000000009F30: D1CB0079 05E60909
	v_fma_f32 v122, v10, v4, v122                              // 000000009F38: D1CB007A 05EA090A
	v_fma_f32 v123, v11, v4, v123                              // 000000009F40: D1CB007B 05EE090B
	v_mul_f32_dpp v4, v24, v44 row_newbcast:1 row_mask:0xf bank_mask:0xf// 000000009F48: 0A0858FA FF015118
	v_mfma_f32_16x16x32_fp8_fp8 v[8:11], a[104:105], a[8:9], 0 // 000000009F50: D3F30008 1A021168
	v_mfma_f32_16x16x32_fp8_fp8 v[8:11], a[106:107], a[10:11], v[8:11]// 000000009F58: D3F30008 1C22156A
	v_mfma_f32_16x16x32_fp8_fp8 v[8:11], a[108:109], a[12:13], v[8:11]// 000000009F60: D3F30008 1C22196C
	v_mfma_f32_16x16x32_fp8_fp8 v[8:11], a[110:111], a[14:15], v[8:11]// 000000009F68: D3F30008 1C221D6E
	v_fma_f32 v124, v12, v6, v124                              // 000000009F70: D1CB007C 05F20D0C
	v_fma_f32 v125, v13, v6, v125                              // 000000009F78: D1CB007D 05F60D0D
	v_fma_f32 v126, v14, v6, v126                              // 000000009F80: D1CB007E 05FA0D0E
	v_fma_f32 v127, v15, v6, v127                              // 000000009F88: D1CB007F 05FE0D0F
	v_mul_f32_dpp v6, v24, v45 row_newbcast:1 row_mask:0xf bank_mask:0xf// 000000009F90: 0A0C5AFA FF015118
	v_mfma_f32_16x16x32_fp8_fp8 v[12:15], a[104:105], a[16:17], 0// 000000009F98: D3F3000C 1A022168
	v_mfma_f32_16x16x32_fp8_fp8 v[12:15], a[106:107], a[18:19], v[12:15]// 000000009FA0: D3F3000C 1C32256A
	v_mfma_f32_16x16x32_fp8_fp8 v[12:15], a[108:109], a[20:21], v[12:15]// 000000009FA8: D3F3000C 1C32296C
	v_mfma_f32_16x16x32_fp8_fp8 v[12:15], a[110:111], a[22:23], v[12:15]// 000000009FB0: D3F3000C 1C322D6E
	v_fma_f32 v128, v8, v4, v128                               // 000000009FB8: D1CB0080 06020908
	v_fma_f32 v129, v9, v4, v129                               // 000000009FC0: D1CB0081 06060909
	v_fma_f32 v130, v10, v4, v130                              // 000000009FC8: D1CB0082 060A090A
	v_fma_f32 v131, v11, v4, v131                              // 000000009FD0: D1CB0083 060E090B
	v_mul_f32_dpp v4, v24, v46 row_newbcast:1 row_mask:0xf bank_mask:0xf// 000000009FD8: 0A085CFA FF015118
	v_mfma_f32_16x16x32_fp8_fp8 v[8:11], a[104:105], a[24:25], 0// 000000009FE0: D3F30008 1A023168
	v_mfma_f32_16x16x32_fp8_fp8 v[8:11], a[106:107], a[26:27], v[8:11]// 000000009FE8: D3F30008 1C22356A
	v_mfma_f32_16x16x32_fp8_fp8 v[8:11], a[108:109], a[28:29], v[8:11]// 000000009FF0: D3F30008 1C22396C
	v_mfma_f32_16x16x32_fp8_fp8 v[8:11], a[110:111], a[30:31], v[8:11]// 000000009FF8: D3F30008 1C223D6E
	v_fma_f32 v132, v12, v6, v132                              // 00000000A000: D1CB0084 06120D0C
	v_fma_f32 v133, v13, v6, v133                              // 00000000A008: D1CB0085 06160D0D
	v_fma_f32 v134, v14, v6, v134                              // 00000000A010: D1CB0086 061A0D0E
	v_fma_f32 v135, v15, v6, v135                              // 00000000A018: D1CB0087 061E0D0F
	v_mul_f32_dpp v6, v24, v47 row_newbcast:1 row_mask:0xf bank_mask:0xf// 00000000A020: 0A0C5EFA FF015118
	v_mfma_f32_16x16x32_fp8_fp8 v[12:15], a[104:105], a[32:33], 0// 00000000A028: D3F3000C 1A024168
	v_mfma_f32_16x16x32_fp8_fp8 v[12:15], a[106:107], a[34:35], v[12:15]// 00000000A030: D3F3000C 1C32456A
	s_add_u32 s60, 0x80, s80                                   // 00000000A038: 803C50FF 00000080
	s_cmp_lt_u32 s60, s81                                      // 00000000A040: BF0A513C
	s_cselect_b32 s83, s83, 0                                  // 00000000A044: 85538053
	s_cselect_b32 s4, s4, 0                                    // 00000000A048: 85048004
	v_mfma_f32_16x16x32_fp8_fp8 v[12:15], a[108:109], a[36:37], v[12:15]// 00000000A04C: D3F3000C 1C32496C
	s_add_u32 s32, s4, s32                                     // 00000000A054: 80202004
	s_addc_u32 s33, 0, s33                                     // 00000000A058: 82212180
	v_mfma_f32_16x16x32_fp8_fp8 v[12:15], a[110:111], a[38:39], v[12:15]// 00000000A05C: D3F3000C 1C324D6E
	v_fma_f32 v136, v8, v4, v136                               // 00000000A064: D1CB0088 06220908
	v_fma_f32 v137, v9, v4, v137                               // 00000000A06C: D1CB0089 06260909
	v_fma_f32 v138, v10, v4, v138                              // 00000000A074: D1CB008A 062A090A
	v_fma_f32 v139, v11, v4, v139                              // 00000000A07C: D1CB008B 062E090B
	v_fma_f32 v140, v12, v6, v140                              // 00000000A084: D1CB008C 06320D0C
	v_fma_f32 v141, v13, v6, v141                              // 00000000A08C: D1CB008D 06360D0D
	v_fma_f32 v142, v14, v6, v142                              // 00000000A094: D1CB008E 063A0D0E
	v_fma_f32 v143, v15, v6, v143                              // 00000000A09C: D1CB008F 063E0D0F
	s_waitcnt vmcnt(15)                                        // 00000000A0A4: BF8C0F7F
	v_mul_f32_dpp v4, v27, v43 row_newbcast:0 row_mask:0xf bank_mask:0xf// 00000000A0A8: 0A0856FA FF01501B
	v_mfma_f32_16x16x32_fp8_fp8 v[8:11], a[112:113], a[0:1], 0 // 00000000A0B0: D3F30008 1A020170
	buffer_load_dword v24, v22, s[32:35], 0 offen              // 00000000A0B8: E0501000 80081816
	buffer_load_dwordx4 a[80:83], v58, s[24:27], 0 offen       // 00000000A0C0: E05C1000 8086503A
	v_mfma_f32_16x16x32_fp8_fp8 v[8:11], a[114:115], a[2:3], v[8:11]// 00000000A0C8: D3F30008 1C220572
	v_mfma_f32_16x16x32_fp8_fp8 v[8:11], a[116:117], a[4:5], v[8:11]// 00000000A0D0: D3F30008 1C220974
	ds_read_b128 a[40:43], v2 offset:10368                     // 00000000A0D8: DBFE2880 28000002
	ds_read_b128 a[44:47], v2 offset:10432                     // 00000000A0E0: DBFE28C0 2C000002
	v_mfma_f32_16x16x32_fp8_fp8 v[8:11], a[118:119], a[6:7], v[8:11]// 00000000A0E8: D3F30008 1C220D76
	v_mfma_f32_16x16x32_fp8_fp8 v[12:15], a[120:121], a[0:1], 0// 00000000A0F0: D3F3000C 1A020178
	buffer_load_dwordx4 a[84:87], v58, s[24:27], 0 offen offset:1024// 00000000A0F8: E05C1400 8086543A
	v_mfma_f32_16x16x32_fp8_fp8 v[12:15], a[122:123], a[2:3], v[12:15]// 00000000A100: D3F3000C 1C32057A
	v_mfma_f32_16x16x32_fp8_fp8 v[12:15], a[124:125], a[4:5], v[12:15]// 00000000A108: D3F3000C 1C32097C
	ds_read_b128 a[48:51], v2 offset:10880                     // 00000000A110: DBFE2A80 30000002
	ds_read_b128 a[52:55], v2 offset:10944                     // 00000000A118: DBFE2AC0 34000002
	v_mfma_f32_16x16x32_fp8_fp8 v[12:15], a[126:127], a[6:7], v[12:15]// 00000000A120: D3F3000C 1C320D7E
	v_fma_f32 v144, v8, v4, v144                               // 00000000A128: D1CB0090 06420908
	v_fma_f32 v145, v9, v4, v145                               // 00000000A130: D1CB0091 06460909
	v_fma_f32 v146, v10, v4, v146                              // 00000000A138: D1CB0092 064A090A
	v_fma_f32 v147, v11, v4, v147                              // 00000000A140: D1CB0093 064E090B
	v_mul_f32_dpp v6, v27, v43 row_newbcast:1 row_mask:0xf bank_mask:0xf// 00000000A148: 0A0C56FA FF01511B
	v_mfma_f32_16x16x32_fp8_fp8 v[8:11], a[128:129], a[0:1], 0 // 00000000A150: D3F30008 1A020180
	buffer_load_dwordx4 a[88:91], v59, s[24:27], 0 offen       // 00000000A158: E05C1000 8086583B
	v_mfma_f32_16x16x32_fp8_fp8 v[8:11], a[130:131], a[2:3], v[8:11]// 00000000A160: D3F30008 1C220582
	v_mfma_f32_16x16x32_fp8_fp8 v[8:11], a[132:133], a[4:5], v[8:11]// 00000000A168: D3F30008 1C220984
	ds_read_b128 a[56:59], v2 offset:11392                     // 00000000A170: DBFE2C80 38000002
	ds_read_b128 a[60:63], v2 offset:11456                     // 00000000A178: DBFE2CC0 3C000002
	v_mfma_f32_16x16x32_fp8_fp8 v[8:11], a[134:135], a[6:7], v[8:11]// 00000000A180: D3F30008 1C220D86
	v_fma_f32 v164, v12, v4, v164                              // 00000000A188: D1CB00A4 0692090C
	v_fma_f32 v165, v13, v4, v165                              // 00000000A190: D1CB00A5 0696090D
	v_fma_f32 v166, v14, v4, v166                              // 00000000A198: D1CB00A6 069A090E
	v_fma_f32 v167, v15, v4, v167                              // 00000000A1A0: D1CB00A7 069E090F
	v_mfma_f32_16x16x32_fp8_fp8 v[12:15], a[136:137], a[0:1], 0// 00000000A1A8: D3F3000C 1A020188
	buffer_load_dwordx4 a[92:95], v59, s[24:27], 0 offen offset:1024// 00000000A1B0: E05C1400 80865C3B
	v_mfma_f32_16x16x32_fp8_fp8 v[12:15], a[138:139], a[2:3], v[12:15]// 00000000A1B8: D3F3000C 1C32058A
	v_mfma_f32_16x16x32_fp8_fp8 v[12:15], a[140:141], a[4:5], v[12:15]// 00000000A1C0: D3F3000C 1C32098C
	ds_read_b128 a[64:67], v2 offset:11904                     // 00000000A1C8: DBFE2E80 40000002
	ds_read_b128 a[68:71], v2 offset:11968                     // 00000000A1D0: DBFE2EC0 44000002
	v_mfma_f32_16x16x32_fp8_fp8 v[12:15], a[142:143], a[6:7], v[12:15]// 00000000A1D8: D3F3000C 1C320D8E
	v_fma_f32 v184, v8, v6, v184                               // 00000000A1E0: D1CB00B8 06E20D08
	v_fma_f32 v185, v9, v6, v185                               // 00000000A1E8: D1CB00B9 06E60D09
	v_fma_f32 v186, v10, v6, v186                              // 00000000A1F0: D1CB00BA 06EA0D0A
	v_fma_f32 v187, v11, v6, v187                              // 00000000A1F8: D1CB00BB 06EE0D0B
	v_mul_f32_dpp v4, v27, v44 row_newbcast:0 row_mask:0xf bank_mask:0xf// 00000000A200: 0A0858FA FF01501B
	v_mfma_f32_16x16x32_fp8_fp8 v[8:11], a[112:113], a[8:9], 0 // 00000000A208: D3F30008 1A021170
	buffer_load_dwordx4 a[96:99], v60, s[24:27], 0 offen       // 00000000A210: E05C1000 8086603C
	v_mfma_f32_16x16x32_fp8_fp8 v[8:11], a[114:115], a[10:11], v[8:11]// 00000000A218: D3F30008 1C221572
	v_mfma_f32_16x16x32_fp8_fp8 v[8:11], a[116:117], a[12:13], v[8:11]// 00000000A220: D3F30008 1C221974
	ds_read_b128 a[72:75], v2 offset:12416                     // 00000000A228: DBFE3080 48000002
	ds_read_b128 a[76:79], v2 offset:12480                     // 00000000A230: DBFE30C0 4C000002
	v_mfma_f32_16x16x32_fp8_fp8 v[8:11], a[118:119], a[14:15], v[8:11]// 00000000A238: D3F30008 1C221D76
	v_fma_f32 v204, v12, v6, v204                              // 00000000A240: D1CB00CC 07320D0C
	v_fma_f32 v205, v13, v6, v205                              // 00000000A248: D1CB00CD 07360D0D
	v_fma_f32 v206, v14, v6, v206                              // 00000000A250: D1CB00CE 073A0D0E
	v_fma_f32 v207, v15, v6, v207                              // 00000000A258: D1CB00CF 073E0D0F
	v_mfma_f32_16x16x32_fp8_fp8 v[12:15], a[120:121], a[8:9], 0// 00000000A260: D3F3000C 1A021178
	buffer_load_dwordx4 a[100:103], v60, s[24:27], 0 offen offset:1024// 00000000A268: E05C1400 8086643C
	v_mfma_f32_16x16x32_fp8_fp8 v[12:15], a[122:123], a[10:11], v[12:15]// 00000000A270: D3F3000C 1C32157A
	v_mfma_f32_16x16x32_fp8_fp8 v[12:15], a[124:125], a[12:13], v[12:15]// 00000000A278: D3F3000C 1C32197C
	v_mfma_f32_16x16x32_fp8_fp8 v[12:15], a[126:127], a[14:15], v[12:15]// 00000000A280: D3F3000C 1C321D7E
	v_fma_f32 v148, v8, v4, v148                               // 00000000A288: D1CB0094 06520908
	v_fma_f32 v149, v9, v4, v149                               // 00000000A290: D1CB0095 06560909
	v_fma_f32 v150, v10, v4, v150                              // 00000000A298: D1CB0096 065A090A
	v_fma_f32 v151, v11, v4, v151                              // 00000000A2A0: D1CB0097 065E090B
	v_mul_f32_dpp v6, v27, v44 row_newbcast:1 row_mask:0xf bank_mask:0xf// 00000000A2A8: 0A0C58FA FF01511B
	v_mfma_f32_16x16x32_fp8_fp8 v[8:11], a[128:129], a[8:9], 0 // 00000000A2B0: D3F30008 1A021180
	buffer_load_dwordx4 a[104:107], v61, s[24:27], 0 offen     // 00000000A2B8: E05C1000 8086683D
	v_mfma_f32_16x16x32_fp8_fp8 v[8:11], a[130:131], a[10:11], v[8:11]// 00000000A2C0: D3F30008 1C221582
	v_mfma_f32_16x16x32_fp8_fp8 v[8:11], a[132:133], a[12:13], v[8:11]// 00000000A2C8: D3F30008 1C221984
	v_mfma_f32_16x16x32_fp8_fp8 v[8:11], a[134:135], a[14:15], v[8:11]// 00000000A2D0: D3F30008 1C221D86
	v_fma_f32 v168, v12, v4, v168                              // 00000000A2D8: D1CB00A8 06A2090C
	v_fma_f32 v169, v13, v4, v169                              // 00000000A2E0: D1CB00A9 06A6090D
	v_fma_f32 v170, v14, v4, v170                              // 00000000A2E8: D1CB00AA 06AA090E
	v_fma_f32 v171, v15, v4, v171                              // 00000000A2F0: D1CB00AB 06AE090F
	v_mfma_f32_16x16x32_fp8_fp8 v[12:15], a[136:137], a[8:9], 0// 00000000A2F8: D3F3000C 1A021188
	buffer_load_dwordx4 a[108:111], v61, s[24:27], 0 offen offset:1024// 00000000A300: E05C1400 80866C3D
	v_mfma_f32_16x16x32_fp8_fp8 v[12:15], a[138:139], a[10:11], v[12:15]// 00000000A308: D3F3000C 1C32158A
	v_mfma_f32_16x16x32_fp8_fp8 v[12:15], a[140:141], a[12:13], v[12:15]// 00000000A310: D3F3000C 1C32198C
	v_mfma_f32_16x16x32_fp8_fp8 v[12:15], a[142:143], a[14:15], v[12:15]// 00000000A318: D3F3000C 1C321D8E
	v_fma_f32 v188, v8, v6, v188                               // 00000000A320: D1CB00BC 06F20D08
	v_fma_f32 v189, v9, v6, v189                               // 00000000A328: D1CB00BD 06F60D09
	v_fma_f32 v190, v10, v6, v190                              // 00000000A330: D1CB00BE 06FA0D0A
	v_fma_f32 v191, v11, v6, v191                              // 00000000A338: D1CB00BF 06FE0D0B
	v_mul_f32_dpp v4, v27, v45 row_newbcast:0 row_mask:0xf bank_mask:0xf// 00000000A340: 0A085AFA FF01501B
	v_mfma_f32_16x16x32_fp8_fp8 v[8:11], a[112:113], a[16:17], 0// 00000000A348: D3F30008 1A022170
	v_mfma_f32_16x16x32_fp8_fp8 v[8:11], a[114:115], a[18:19], v[8:11]// 00000000A350: D3F30008 1C222572
	v_mfma_f32_16x16x32_fp8_fp8 v[8:11], a[116:117], a[20:21], v[8:11]// 00000000A358: D3F30008 1C222974
	v_mfma_f32_16x16x32_fp8_fp8 v[8:11], a[118:119], a[22:23], v[8:11]// 00000000A360: D3F30008 1C222D76
	v_fma_f32 v208, v12, v6, v208                              // 00000000A368: D1CB00D0 07420D0C
	v_fma_f32 v209, v13, v6, v209                              // 00000000A370: D1CB00D1 07460D0D
	v_fma_f32 v210, v14, v6, v210                              // 00000000A378: D1CB00D2 074A0D0E
	v_fma_f32 v211, v15, v6, v211                              // 00000000A380: D1CB00D3 074E0D0F
	v_mfma_f32_16x16x32_fp8_fp8 v[12:15], a[120:121], a[16:17], 0// 00000000A388: D3F3000C 1A022178
	v_mfma_f32_16x16x32_fp8_fp8 v[12:15], a[122:123], a[18:19], v[12:15]// 00000000A390: D3F3000C 1C32257A
	v_mfma_f32_16x16x32_fp8_fp8 v[12:15], a[124:125], a[20:21], v[12:15]// 00000000A398: D3F3000C 1C32297C
	v_mfma_f32_16x16x32_fp8_fp8 v[12:15], a[126:127], a[22:23], v[12:15]// 00000000A3A0: D3F3000C 1C322D7E
	v_fma_f32 v152, v8, v4, v152                               // 00000000A3A8: D1CB0098 06620908
	v_fma_f32 v153, v9, v4, v153                               // 00000000A3B0: D1CB0099 06660909
	v_fma_f32 v154, v10, v4, v154                              // 00000000A3B8: D1CB009A 066A090A
	v_fma_f32 v155, v11, v4, v155                              // 00000000A3C0: D1CB009B 066E090B
	v_mul_f32_dpp v6, v27, v45 row_newbcast:1 row_mask:0xf bank_mask:0xf// 00000000A3C8: 0A0C5AFA FF01511B
	v_mfma_f32_16x16x32_fp8_fp8 v[8:11], a[128:129], a[16:17], 0// 00000000A3D0: D3F30008 1A022180
	v_mfma_f32_16x16x32_fp8_fp8 v[8:11], a[130:131], a[18:19], v[8:11]// 00000000A3D8: D3F30008 1C222582
	v_mfma_f32_16x16x32_fp8_fp8 v[8:11], a[132:133], a[20:21], v[8:11]// 00000000A3E0: D3F30008 1C222984
	v_mfma_f32_16x16x32_fp8_fp8 v[8:11], a[134:135], a[22:23], v[8:11]// 00000000A3E8: D3F30008 1C222D86
	v_fma_f32 v172, v12, v4, v172                              // 00000000A3F0: D1CB00AC 06B2090C
	v_fma_f32 v173, v13, v4, v173                              // 00000000A3F8: D1CB00AD 06B6090D
	v_fma_f32 v174, v14, v4, v174                              // 00000000A400: D1CB00AE 06BA090E
	v_fma_f32 v175, v15, v4, v175                              // 00000000A408: D1CB00AF 06BE090F
	v_mfma_f32_16x16x32_fp8_fp8 v[12:15], a[136:137], a[16:17], 0// 00000000A410: D3F3000C 1A022188
	v_mfma_f32_16x16x32_fp8_fp8 v[12:15], a[138:139], a[18:19], v[12:15]// 00000000A418: D3F3000C 1C32258A
	v_mfma_f32_16x16x32_fp8_fp8 v[12:15], a[140:141], a[20:21], v[12:15]// 00000000A420: D3F3000C 1C32298C
	v_mfma_f32_16x16x32_fp8_fp8 v[12:15], a[142:143], a[22:23], v[12:15]// 00000000A428: D3F3000C 1C322D8E
	v_fma_f32 v192, v8, v6, v192                               // 00000000A430: D1CB00C0 07020D08
	v_fma_f32 v193, v9, v6, v193                               // 00000000A438: D1CB00C1 07060D09
	v_fma_f32 v194, v10, v6, v194                              // 00000000A440: D1CB00C2 070A0D0A
	v_fma_f32 v195, v11, v6, v195                              // 00000000A448: D1CB00C3 070E0D0B
	v_mul_f32_dpp v4, v27, v46 row_newbcast:0 row_mask:0xf bank_mask:0xf// 00000000A450: 0A085CFA FF01501B
	v_mfma_f32_16x16x32_fp8_fp8 v[8:11], a[112:113], a[24:25], 0// 00000000A458: D3F30008 1A023170
	v_mfma_f32_16x16x32_fp8_fp8 v[8:11], a[114:115], a[26:27], v[8:11]// 00000000A460: D3F30008 1C223572
	v_mfma_f32_16x16x32_fp8_fp8 v[8:11], a[116:117], a[28:29], v[8:11]// 00000000A468: D3F30008 1C223974
	v_mfma_f32_16x16x32_fp8_fp8 v[8:11], a[118:119], a[30:31], v[8:11]// 00000000A470: D3F30008 1C223D76
	v_fma_f32 v212, v12, v6, v212                              // 00000000A478: D1CB00D4 07520D0C
	v_fma_f32 v213, v13, v6, v213                              // 00000000A480: D1CB00D5 07560D0D
	v_fma_f32 v214, v14, v6, v214                              // 00000000A488: D1CB00D6 075A0D0E
	v_fma_f32 v215, v15, v6, v215                              // 00000000A490: D1CB00D7 075E0D0F
	v_mfma_f32_16x16x32_fp8_fp8 v[12:15], a[120:121], a[24:25], 0// 00000000A498: D3F3000C 1A023178
	v_mfma_f32_16x16x32_fp8_fp8 v[12:15], a[122:123], a[26:27], v[12:15]// 00000000A4A0: D3F3000C 1C32357A
	v_mfma_f32_16x16x32_fp8_fp8 v[12:15], a[124:125], a[28:29], v[12:15]// 00000000A4A8: D3F3000C 1C32397C
	v_mfma_f32_16x16x32_fp8_fp8 v[12:15], a[126:127], a[30:31], v[12:15]// 00000000A4B0: D3F3000C 1C323D7E
	v_fma_f32 v156, v8, v4, v156                               // 00000000A4B8: D1CB009C 06720908
	v_fma_f32 v157, v9, v4, v157                               // 00000000A4C0: D1CB009D 06760909
	v_fma_f32 v158, v10, v4, v158                              // 00000000A4C8: D1CB009E 067A090A
	v_fma_f32 v159, v11, v4, v159                              // 00000000A4D0: D1CB009F 067E090B
	v_mul_f32_dpp v6, v27, v46 row_newbcast:1 row_mask:0xf bank_mask:0xf// 00000000A4D8: 0A0C5CFA FF01511B
	v_mfma_f32_16x16x32_fp8_fp8 v[8:11], a[128:129], a[24:25], 0// 00000000A4E0: D3F30008 1A023180
	v_mfma_f32_16x16x32_fp8_fp8 v[8:11], a[130:131], a[26:27], v[8:11]// 00000000A4E8: D3F30008 1C223582
	v_mfma_f32_16x16x32_fp8_fp8 v[8:11], a[132:133], a[28:29], v[8:11]// 00000000A4F0: D3F30008 1C223984
	v_mfma_f32_16x16x32_fp8_fp8 v[8:11], a[134:135], a[30:31], v[8:11]// 00000000A4F8: D3F30008 1C223D86
	v_fma_f32 v176, v12, v4, v176                              // 00000000A500: D1CB00B0 06C2090C
	v_fma_f32 v177, v13, v4, v177                              // 00000000A508: D1CB00B1 06C6090D
	v_fma_f32 v178, v14, v4, v178                              // 00000000A510: D1CB00B2 06CA090E
	v_fma_f32 v179, v15, v4, v179                              // 00000000A518: D1CB00B3 06CE090F
	v_mfma_f32_16x16x32_fp8_fp8 v[12:15], a[136:137], a[24:25], 0// 00000000A520: D3F3000C 1A023188
	v_mfma_f32_16x16x32_fp8_fp8 v[12:15], a[138:139], a[26:27], v[12:15]// 00000000A528: D3F3000C 1C32358A
	v_mfma_f32_16x16x32_fp8_fp8 v[12:15], a[140:141], a[28:29], v[12:15]// 00000000A530: D3F3000C 1C32398C
	v_mfma_f32_16x16x32_fp8_fp8 v[12:15], a[142:143], a[30:31], v[12:15]// 00000000A538: D3F3000C 1C323D8E
	v_fma_f32 v196, v8, v6, v196                               // 00000000A540: D1CB00C4 07120D08
	v_fma_f32 v197, v9, v6, v197                               // 00000000A548: D1CB00C5 07160D09
	v_fma_f32 v198, v10, v6, v198                              // 00000000A550: D1CB00C6 071A0D0A
	v_fma_f32 v199, v11, v6, v199                              // 00000000A558: D1CB00C7 071E0D0B
	v_mul_f32_dpp v4, v27, v47 row_newbcast:0 row_mask:0xf bank_mask:0xf// 00000000A560: 0A085EFA FF01501B
	v_mfma_f32_16x16x32_fp8_fp8 v[8:11], a[112:113], a[32:33], 0// 00000000A568: D3F30008 1A024170
	v_mfma_f32_16x16x32_fp8_fp8 v[8:11], a[114:115], a[34:35], v[8:11]// 00000000A570: D3F30008 1C224572
	v_mfma_f32_16x16x32_fp8_fp8 v[8:11], a[116:117], a[36:37], v[8:11]// 00000000A578: D3F30008 1C224974
	v_mfma_f32_16x16x32_fp8_fp8 v[8:11], a[118:119], a[38:39], v[8:11]// 00000000A580: D3F30008 1C224D76
	v_fma_f32 v216, v12, v6, v216                              // 00000000A588: D1CB00D8 07620D0C
	v_fma_f32 v217, v13, v6, v217                              // 00000000A590: D1CB00D9 07660D0D
	v_fma_f32 v218, v14, v6, v218                              // 00000000A598: D1CB00DA 076A0D0E
	v_fma_f32 v219, v15, v6, v219                              // 00000000A5A0: D1CB00DB 076E0D0F
	v_mfma_f32_16x16x32_fp8_fp8 v[12:15], a[120:121], a[32:33], 0// 00000000A5A8: D3F3000C 1A024178
	v_mfma_f32_16x16x32_fp8_fp8 v[12:15], a[122:123], a[34:35], v[12:15]// 00000000A5B0: D3F3000C 1C32457A
	v_mfma_f32_16x16x32_fp8_fp8 v[12:15], a[124:125], a[36:37], v[12:15]// 00000000A5B8: D3F3000C 1C32497C
	v_mfma_f32_16x16x32_fp8_fp8 v[12:15], a[126:127], a[38:39], v[12:15]// 00000000A5C0: D3F3000C 1C324D7E
	v_fma_f32 v160, v8, v4, v160                               // 00000000A5C8: D1CB00A0 06820908
	v_fma_f32 v161, v9, v4, v161                               // 00000000A5D0: D1CB00A1 06860909
	v_fma_f32 v162, v10, v4, v162                              // 00000000A5D8: D1CB00A2 068A090A
	v_fma_f32 v163, v11, v4, v163                              // 00000000A5E0: D1CB00A3 068E090B
	v_mul_f32_dpp v6, v27, v47 row_newbcast:1 row_mask:0xf bank_mask:0xf// 00000000A5E8: 0A0C5EFA FF01511B
	v_mfma_f32_16x16x32_fp8_fp8 v[8:11], a[128:129], a[32:33], 0// 00000000A5F0: D3F30008 1A024180
	v_mfma_f32_16x16x32_fp8_fp8 v[8:11], a[130:131], a[34:35], v[8:11]// 00000000A5F8: D3F30008 1C224582
	v_mfma_f32_16x16x32_fp8_fp8 v[8:11], a[132:133], a[36:37], v[8:11]// 00000000A600: D3F30008 1C224984
	s_add_u32 s60, 0x180, s80                                  // 00000000A608: 803C50FF 00000180
	s_cmp_lt_u32 s60, s81                                      // 00000000A610: BF0A513C
	s_cselect_b32 s57, s57, 0                                  // 00000000A614: 85398039
	s_cselect_b32 s3, s3, 0                                    // 00000000A618: 85038003
	v_mfma_f32_16x16x32_fp8_fp8 v[8:11], a[134:135], a[38:39], v[8:11]// 00000000A61C: D3F30008 1C224D86
	s_add_u32 s60, 0x100, s80                                  // 00000000A624: 803C50FF 00000100
	s_cmp_lt_u32 s60, s81                                      // 00000000A62C: BF0A513C
	s_cselect_b32 s58, s58, 0                                  // 00000000A630: 853A803A
	v_fma_f32 v180, v12, v4, v180                              // 00000000A634: D1CB00B4 06D2090C
	v_fma_f32 v181, v13, v4, v181                              // 00000000A63C: D1CB00B5 06D6090D
	v_fma_f32 v182, v14, v4, v182                              // 00000000A644: D1CB00B6 06DA090E
	v_fma_f32 v183, v15, v4, v183                              // 00000000A64C: D1CB00B7 06DE090F
	v_mfma_f32_16x16x32_fp8_fp8 v[12:15], a[136:137], a[32:33], 0// 00000000A654: D3F3000C 1A024188
	s_add_u32 s24, s58, s24                                    // 00000000A65C: 8018183A
	s_addc_u32 s25, 0, s25                                     // 00000000A660: 82191980
	v_mfma_f32_16x16x32_fp8_fp8 v[12:15], a[138:139], a[34:35], v[12:15]// 00000000A664: D3F3000C 1C32458A
	s_add_u32 s20, s57, s20                                    // 00000000A66C: 80141439
	s_addc_u32 s21, 0, s21                                     // 00000000A670: 82151580
	s_add_u32 s28, s3, s28                                     // 00000000A674: 801C1C03
	s_addc_u32 s29, 0, s29                                     // 00000000A678: 821D1D80
	v_mfma_f32_16x16x32_fp8_fp8 v[12:15], a[140:141], a[36:37], v[12:15]// 00000000A67C: D3F3000C 1C32498C
	s_add_u32 s84, s83, s84                                    // 00000000A684: 80545453
	s_addc_u32 s85, 0, s85                                     // 00000000A688: 82555580
	v_mfma_f32_16x16x32_fp8_fp8 v[12:15], a[142:143], a[38:39], v[12:15]// 00000000A68C: D3F3000C 1C324D8E
	v_fma_f32 v200, v8, v6, v200                               // 00000000A694: D1CB00C8 07220D08
	v_fma_f32 v201, v9, v6, v201                               // 00000000A69C: D1CB00C9 07260D09
	v_fma_f32 v202, v10, v6, v202                              // 00000000A6A4: D1CB00CA 072A0D0A
	v_fma_f32 v203, v11, v6, v203                              // 00000000A6AC: D1CB00CB 072E0D0B
	v_fma_f32 v220, v12, v6, v220                              // 00000000A6B4: D1CB00DC 07720D0C
	v_fma_f32 v221, v13, v6, v221                              // 00000000A6BC: D1CB00DD 07760D0D
	v_fma_f32 v222, v14, v6, v222                              // 00000000A6C4: D1CB00DE 077A0D0E
	v_fma_f32 v223, v15, v6, v223                              // 00000000A6CC: D1CB00DF 077E0D0F
	s_addk_i32 s80, 0x80                                       // 00000000A6D4: B7500080
	s_cmp_lt_i32 s80, s81                                      // 00000000A6D8: BF045150
	s_cbranch_scc0 label_2287                                  // 00000000A6DC: BF84034C
	s_waitcnt vmcnt(6) lgkmcnt(0)                              // 00000000A6E0: BF8C0076
	s_barrier                                                  // 00000000A6E4: BF8A0000
	v_mov_b32_e32 v43, v38                                     // 00000000A6E8: 7E560326
	v_mov_b32_e32 v44, v39                                     // 00000000A6EC: 7E580327
	v_mov_b32_e32 v45, v40                                     // 00000000A6F0: 7E5A0328
	v_mov_b32_e32 v46, v41                                     // 00000000A6F4: 7E5C0329
	v_mov_b32_e32 v47, v42                                     // 00000000A6F8: 7E5E032A
	v_mul_f32_dpp v4, v24, v43 row_newbcast:0 row_mask:0xf bank_mask:0xf// 00000000A6FC: 0A0856FA FF015018
	v_mfma_f32_16x16x32_fp8_fp8 v[8:11], a[80:81], a[40:41], 0 // 00000000A704: D3F30008 1A025150
	buffer_load_dword v27, v23, s[32:35], 0 offen              // 00000000A70C: E0501000 80081B17
	buffer_load_dwordx4 a[112:115], v58, s[84:87], 0 offen     // 00000000A714: E05C1000 8095703A
	v_mfma_f32_16x16x32_fp8_fp8 v[8:11], a[82:83], a[42:43], v[8:11]// 00000000A71C: D3F30008 1C225552
	v_mfma_f32_16x16x32_fp8_fp8 v[8:11], a[84:85], a[44:45], v[8:11]// 00000000A724: D3F30008 1C225954
	v_mfma_f32_16x16x32_fp8_fp8 v[8:11], a[86:87], a[46:47], v[8:11]// 00000000A72C: D3F30008 1C225D56
	v_mul_f32_dpp v6, v24, v44 row_newbcast:0 row_mask:0xf bank_mask:0xf// 00000000A734: 0A0C58FA FF015018
	v_mfma_f32_16x16x32_fp8_fp8 v[12:15], a[80:81], a[48:49], 0// 00000000A73C: D3F3000C 1A026150
	buffer_load_dwordx4 a[116:119], v58, s[84:87], 0 offen offset:1024// 00000000A744: E05C1400 8095743A
	v_mfma_f32_16x16x32_fp8_fp8 v[12:15], a[82:83], a[50:51], v[12:15]// 00000000A74C: D3F3000C 1C326552
	v_mfma_f32_16x16x32_fp8_fp8 v[12:15], a[84:85], a[52:53], v[12:15]// 00000000A754: D3F3000C 1C326954
	v_mfma_f32_16x16x32_fp8_fp8 v[12:15], a[86:87], a[54:55], v[12:15]// 00000000A75C: D3F3000C 1C326D56
	v_fma_f32 v64, v8, v4, v64                                 // 00000000A764: D1CB0040 05020908
	v_fma_f32 v65, v9, v4, v65                                 // 00000000A76C: D1CB0041 05060909
	v_fma_f32 v66, v10, v4, v66                                // 00000000A774: D1CB0042 050A090A
	v_fma_f32 v67, v11, v4, v67                                // 00000000A77C: D1CB0043 050E090B
	v_mul_f32_dpp v4, v24, v45 row_newbcast:0 row_mask:0xf bank_mask:0xf// 00000000A784: 0A085AFA FF015018
	v_mfma_f32_16x16x32_fp8_fp8 v[8:11], a[80:81], a[56:57], 0 // 00000000A78C: D3F30008 1A027150
	buffer_load_dwordx4 a[120:123], v59, s[84:87], 0 offen     // 00000000A794: E05C1000 8095783B
	v_mfma_f32_16x16x32_fp8_fp8 v[8:11], a[82:83], a[58:59], v[8:11]// 00000000A79C: D3F30008 1C227552
	v_mfma_f32_16x16x32_fp8_fp8 v[8:11], a[84:85], a[60:61], v[8:11]// 00000000A7A4: D3F30008 1C227954
	v_mfma_f32_16x16x32_fp8_fp8 v[8:11], a[86:87], a[62:63], v[8:11]// 00000000A7AC: D3F30008 1C227D56
	v_fma_f32 v68, v12, v6, v68                                // 00000000A7B4: D1CB0044 05120D0C
	v_fma_f32 v69, v13, v6, v69                                // 00000000A7BC: D1CB0045 05160D0D
	v_fma_f32 v70, v14, v6, v70                                // 00000000A7C4: D1CB0046 051A0D0E
	v_fma_f32 v71, v15, v6, v71                                // 00000000A7CC: D1CB0047 051E0D0F
	v_mul_f32_dpp v6, v24, v46 row_newbcast:0 row_mask:0xf bank_mask:0xf// 00000000A7D4: 0A0C5CFA FF015018
	v_mfma_f32_16x16x32_fp8_fp8 v[12:15], a[80:81], a[64:65], 0// 00000000A7DC: D3F3000C 1A028150
	buffer_load_dwordx4 a[124:127], v59, s[84:87], 0 offen offset:1024// 00000000A7E4: E05C1400 80957C3B
	v_mfma_f32_16x16x32_fp8_fp8 v[12:15], a[82:83], a[66:67], v[12:15]// 00000000A7EC: D3F3000C 1C328552
	v_mfma_f32_16x16x32_fp8_fp8 v[12:15], a[84:85], a[68:69], v[12:15]// 00000000A7F4: D3F3000C 1C328954
	v_mfma_f32_16x16x32_fp8_fp8 v[12:15], a[86:87], a[70:71], v[12:15]// 00000000A7FC: D3F3000C 1C328D56
	v_fma_f32 v72, v8, v4, v72                                 // 00000000A804: D1CB0048 05220908
	v_fma_f32 v73, v9, v4, v73                                 // 00000000A80C: D1CB0049 05260909
	v_fma_f32 v74, v10, v4, v74                                // 00000000A814: D1CB004A 052A090A
	v_fma_f32 v75, v11, v4, v75                                // 00000000A81C: D1CB004B 052E090B
	v_mul_f32_dpp v4, v24, v47 row_newbcast:0 row_mask:0xf bank_mask:0xf// 00000000A824: 0A085EFA FF015018
	v_mfma_f32_16x16x32_fp8_fp8 v[8:11], a[80:81], a[72:73], 0 // 00000000A82C: D3F30008 1A029150
	buffer_load_dwordx4 a[128:131], v60, s[84:87], 0 offen     // 00000000A834: E05C1000 8095803C
	v_mfma_f32_16x16x32_fp8_fp8 v[8:11], a[82:83], a[74:75], v[8:11]// 00000000A83C: D3F30008 1C229552
	v_mfma_f32_16x16x32_fp8_fp8 v[8:11], a[84:85], a[76:77], v[8:11]// 00000000A844: D3F30008 1C229954
	v_mfma_f32_16x16x32_fp8_fp8 v[8:11], a[86:87], a[78:79], v[8:11]// 00000000A84C: D3F30008 1C229D56
	v_fma_f32 v76, v12, v6, v76                                // 00000000A854: D1CB004C 05320D0C
	v_fma_f32 v77, v13, v6, v77                                // 00000000A85C: D1CB004D 05360D0D
	v_fma_f32 v78, v14, v6, v78                                // 00000000A864: D1CB004E 053A0D0E
	v_fma_f32 v79, v15, v6, v79                                // 00000000A86C: D1CB004F 053E0D0F
	s_waitcnt vmcnt(10)                                        // 00000000A874: BF8C0F7A
	v_mul_f32_dpp v6, v24, v43 row_newbcast:0 row_mask:0xf bank_mask:0xf// 00000000A878: 0A0C56FA FF015018
	v_mfma_f32_16x16x32_fp8_fp8 v[12:15], a[88:89], a[40:41], 0// 00000000A880: D3F3000C 1A025158
	buffer_load_dwordx4 a[132:135], v60, s[84:87], 0 offen offset:1024// 00000000A888: E05C1400 8095843C
	v_mfma_f32_16x16x32_fp8_fp8 v[12:15], a[90:91], a[42:43], v[12:15]// 00000000A890: D3F3000C 1C32555A
	v_mfma_f32_16x16x32_fp8_fp8 v[12:15], a[92:93], a[44:45], v[12:15]// 00000000A898: D3F3000C 1C32595C
	v_mfma_f32_16x16x32_fp8_fp8 v[12:15], a[94:95], a[46:47], v[12:15]// 00000000A8A0: D3F3000C 1C325D5E
	v_fma_f32 v80, v8, v4, v80                                 // 00000000A8A8: D1CB0050 05420908
	v_fma_f32 v81, v9, v4, v81                                 // 00000000A8B0: D1CB0051 05460909
	v_fma_f32 v82, v10, v4, v82                                // 00000000A8B8: D1CB0052 054A090A
	v_fma_f32 v83, v11, v4, v83                                // 00000000A8C0: D1CB0053 054E090B
	v_mul_f32_dpp v4, v24, v44 row_newbcast:0 row_mask:0xf bank_mask:0xf// 00000000A8C8: 0A0858FA FF015018
	v_mfma_f32_16x16x32_fp8_fp8 v[8:11], a[88:89], a[48:49], 0 // 00000000A8D0: D3F30008 1A026158
	buffer_load_dwordx4 a[136:139], v61, s[84:87], 0 offen     // 00000000A8D8: E05C1000 8095883D
	v_mfma_f32_16x16x32_fp8_fp8 v[8:11], a[90:91], a[50:51], v[8:11]// 00000000A8E0: D3F30008 1C22655A
	v_mfma_f32_16x16x32_fp8_fp8 v[8:11], a[92:93], a[52:53], v[8:11]// 00000000A8E8: D3F30008 1C22695C
	v_mfma_f32_16x16x32_fp8_fp8 v[8:11], a[94:95], a[54:55], v[8:11]// 00000000A8F0: D3F30008 1C226D5E
	v_fma_f32 v84, v12, v6, v84                                // 00000000A8F8: D1CB0054 05520D0C
	v_fma_f32 v85, v13, v6, v85                                // 00000000A900: D1CB0055 05560D0D
	v_fma_f32 v86, v14, v6, v86                                // 00000000A908: D1CB0056 055A0D0E
	v_fma_f32 v87, v15, v6, v87                                // 00000000A910: D1CB0057 055E0D0F
	v_mul_f32_dpp v6, v24, v45 row_newbcast:0 row_mask:0xf bank_mask:0xf// 00000000A918: 0A0C5AFA FF015018
	v_mfma_f32_16x16x32_fp8_fp8 v[12:15], a[88:89], a[56:57], 0// 00000000A920: D3F3000C 1A027158
	buffer_load_dwordx4 a[140:143], v61, s[84:87], 0 offen offset:1024// 00000000A928: E05C1400 80958C3D
	buffer_load_dword v48, s[20:23], 0 offen lds               // 00000000A930: E0511000 80050030
	s_add_u32 m0, 0x100, s49                                   // 00000000A938: 807C31FF 00000100
	v_mfma_f32_16x16x32_fp8_fp8 v[12:15], a[90:91], a[58:59], v[12:15]// 00000000A940: D3F3000C 1C32755A
	v_mfma_f32_16x16x32_fp8_fp8 v[12:15], a[92:93], a[60:61], v[12:15]// 00000000A948: D3F3000C 1C32795C
	buffer_load_dword v49, s[20:23], 0 offen lds               // 00000000A950: E0511000 80050031
	s_add_u32 m0, 0x200, s49                                   // 00000000A958: 807C31FF 00000200
	v_mfma_f32_16x16x32_fp8_fp8 v[12:15], a[94:95], a[62:63], v[12:15]// 00000000A960: D3F3000C 1C327D5E
	v_fma_f32 v88, v8, v4, v88                                 // 00000000A968: D1CB0058 05620908
	v_fma_f32 v89, v9, v4, v89                                 // 00000000A970: D1CB0059 05660909
	v_fma_f32 v90, v10, v4, v90                                // 00000000A978: D1CB005A 056A090A
	v_fma_f32 v91, v11, v4, v91                                // 00000000A980: D1CB005B 056E090B
	v_mul_f32_dpp v4, v24, v46 row_newbcast:0 row_mask:0xf bank_mask:0xf// 00000000A988: 0A085CFA FF015018
	v_mfma_f32_16x16x32_fp8_fp8 v[8:11], a[88:89], a[64:65], 0 // 00000000A990: D3F30008 1A028158
	buffer_load_dword v50, s[20:23], 0 offen lds               // 00000000A998: E0511000 80050032
	s_add_u32 m0, 0x300, s49                                   // 00000000A9A0: 807C31FF 00000300
	v_mfma_f32_16x16x32_fp8_fp8 v[8:11], a[90:91], a[66:67], v[8:11]// 00000000A9A8: D3F30008 1C22855A
	v_mfma_f32_16x16x32_fp8_fp8 v[8:11], a[92:93], a[68:69], v[8:11]// 00000000A9B0: D3F30008 1C22895C
	buffer_load_dword v51, s[20:23], 0 offen lds               // 00000000A9B8: E0511000 80050033
	s_add_u32 m0, 0x400, s49                                   // 00000000A9C0: 807C31FF 00000400
	v_mfma_f32_16x16x32_fp8_fp8 v[8:11], a[94:95], a[70:71], v[8:11]// 00000000A9C8: D3F30008 1C228D5E
	v_fma_f32 v92, v12, v6, v92                                // 00000000A9D0: D1CB005C 05720D0C
	v_fma_f32 v93, v13, v6, v93                                // 00000000A9D8: D1CB005D 05760D0D
	v_fma_f32 v94, v14, v6, v94                                // 00000000A9E0: D1CB005E 057A0D0E
	v_fma_f32 v95, v15, v6, v95                                // 00000000A9E8: D1CB005F 057E0D0F
	v_mul_f32_dpp v6, v24, v47 row_newbcast:0 row_mask:0xf bank_mask:0xf// 00000000A9F0: 0A0C5EFA FF015018
	v_mfma_f32_16x16x32_fp8_fp8 v[12:15], a[88:89], a[72:73], 0// 00000000A9F8: D3F3000C 1A029158
	buffer_load_dword v52, s[20:23], 0 offen lds               // 00000000AA00: E0511000 80050034
	s_add_u32 m0, 0x500, s49                                   // 00000000AA08: 807C31FF 00000500
	v_mfma_f32_16x16x32_fp8_fp8 v[12:15], a[90:91], a[74:75], v[12:15]// 00000000AA10: D3F3000C 1C32955A
	v_mfma_f32_16x16x32_fp8_fp8 v[12:15], a[92:93], a[76:77], v[12:15]// 00000000AA18: D3F3000C 1C32995C
	buffer_load_dword v53, s[20:23], 0 offen lds               // 00000000AA20: E0511000 80050035
	s_add_u32 m0, 0x600, s49                                   // 00000000AA28: 807C31FF 00000600
	v_mfma_f32_16x16x32_fp8_fp8 v[12:15], a[94:95], a[78:79], v[12:15]// 00000000AA30: D3F3000C 1C329D5E
	v_fma_f32 v96, v8, v4, v96                                 // 00000000AA38: D1CB0060 05820908
	v_fma_f32 v97, v9, v4, v97                                 // 00000000AA40: D1CB0061 05860909
	v_fma_f32 v98, v10, v4, v98                                // 00000000AA48: D1CB0062 058A090A
	v_fma_f32 v99, v11, v4, v99                                // 00000000AA50: D1CB0063 058E090B
	s_waitcnt vmcnt(17)                                        // 00000000AA58: BF8C4F71
	v_mul_f32_dpp v4, v24, v43 row_newbcast:1 row_mask:0xf bank_mask:0xf// 00000000AA5C: 0A0856FA FF015118
	v_mfma_f32_16x16x32_fp8_fp8 v[8:11], a[96:97], a[40:41], 0 // 00000000AA64: D3F30008 1A025160
	buffer_load_dword v54, s[20:23], 0 offen lds               // 00000000AA6C: E0511000 80050036
	s_add_u32 m0, 0x700, s49                                   // 00000000AA74: 807C31FF 00000700
	v_mfma_f32_16x16x32_fp8_fp8 v[8:11], a[98:99], a[42:43], v[8:11]// 00000000AA7C: D3F30008 1C225562
	v_mfma_f32_16x16x32_fp8_fp8 v[8:11], a[100:101], a[44:45], v[8:11]// 00000000AA84: D3F30008 1C225964
	buffer_load_dword v55, s[20:23], 0 offen lds               // 00000000AA8C: E0511000 80050037
	s_add_u32 m0, 0x800, s49                                   // 00000000AA94: 807C31FF 00000800
	v_mfma_f32_16x16x32_fp8_fp8 v[8:11], a[102:103], a[46:47], v[8:11]// 00000000AA9C: D3F30008 1C225D66
	v_fma_f32 v100, v12, v6, v100                              // 00000000AAA4: D1CB0064 05920D0C
	v_fma_f32 v101, v13, v6, v101                              // 00000000AAAC: D1CB0065 05960D0D
	v_fma_f32 v102, v14, v6, v102                              // 00000000AAB4: D1CB0066 059A0D0E
	v_fma_f32 v103, v15, v6, v103                              // 00000000AABC: D1CB0067 059E0D0F
	v_mul_f32_dpp v6, v24, v44 row_newbcast:1 row_mask:0xf bank_mask:0xf// 00000000AAC4: 0A0C58FA FF015118
	v_mfma_f32_16x16x32_fp8_fp8 v[12:15], a[96:97], a[48:49], 0// 00000000AACC: D3F3000C 1A026160
	buffer_load_dword v56, s[20:23], 0 offen lds               // 00000000AAD4: E0511000 80050038
	s_add_u32 m0, 0x900, s49                                   // 00000000AADC: 807C31FF 00000900
	v_mfma_f32_16x16x32_fp8_fp8 v[12:15], a[98:99], a[50:51], v[12:15]// 00000000AAE4: D3F3000C 1C326562
	v_mfma_f32_16x16x32_fp8_fp8 v[12:15], a[100:101], a[52:53], v[12:15]// 00000000AAEC: D3F3000C 1C326964
	buffer_load_dword v57, s[20:23], 0 offen lds               // 00000000AAF4: E0511000 80050039
	s_add_u32 m0, 0, s48                                       // 00000000AAFC: 807C3080
	v_mfma_f32_16x16x32_fp8_fp8 v[12:15], a[102:103], a[54:55], v[12:15]// 00000000AB00: D3F3000C 1C326D66
	v_fma_f32 v104, v8, v4, v104                               // 00000000AB08: D1CB0068 05A20908
	v_fma_f32 v105, v9, v4, v105                               // 00000000AB10: D1CB0069 05A60909
	v_fma_f32 v106, v10, v4, v106                              // 00000000AB18: D1CB006A 05AA090A
	v_fma_f32 v107, v11, v4, v107                              // 00000000AB20: D1CB006B 05AE090B
	v_mul_f32_dpp v4, v24, v45 row_newbcast:1 row_mask:0xf bank_mask:0xf// 00000000AB28: 0A085AFA FF015118
	v_mfma_f32_16x16x32_fp8_fp8 v[8:11], a[96:97], a[56:57], 0 // 00000000AB30: D3F30008 1A027160
	buffer_load_dword v38, v28, s[28:31], 0 offen              // 00000000AB38: E0501000 8007261C
	v_mfma_f32_16x16x32_fp8_fp8 v[8:11], a[98:99], a[58:59], v[8:11]// 00000000AB40: D3F30008 1C227562
	v_mfma_f32_16x16x32_fp8_fp8 v[8:11], a[100:101], a[60:61], v[8:11]// 00000000AB48: D3F30008 1C227964
	buffer_load_dword v39, v29, s[28:31], 0 offen              // 00000000AB50: E0501000 8007271D
	v_mfma_f32_16x16x32_fp8_fp8 v[8:11], a[102:103], a[62:63], v[8:11]// 00000000AB58: D3F30008 1C227D66
	v_fma_f32 v108, v12, v6, v108                              // 00000000AB60: D1CB006C 05B20D0C
	v_fma_f32 v109, v13, v6, v109                              // 00000000AB68: D1CB006D 05B60D0D
	v_fma_f32 v110, v14, v6, v110                              // 00000000AB70: D1CB006E 05BA0D0E
	v_fma_f32 v111, v15, v6, v111                              // 00000000AB78: D1CB006F 05BE0D0F
	v_mul_f32_dpp v6, v24, v46 row_newbcast:1 row_mask:0xf bank_mask:0xf// 00000000AB80: 0A0C5CFA FF015118
	v_mfma_f32_16x16x32_fp8_fp8 v[12:15], a[96:97], a[64:65], 0// 00000000AB88: D3F3000C 1A028160
	buffer_load_dword v40, v30, s[28:31], 0 offen              // 00000000AB90: E0501000 8007281E
	v_mfma_f32_16x16x32_fp8_fp8 v[12:15], a[98:99], a[66:67], v[12:15]// 00000000AB98: D3F3000C 1C328562
	v_mfma_f32_16x16x32_fp8_fp8 v[12:15], a[100:101], a[68:69], v[12:15]// 00000000ABA0: D3F3000C 1C328964
	buffer_load_dword v41, v31, s[28:31], 0 offen              // 00000000ABA8: E0501000 8007291F
	v_mfma_f32_16x16x32_fp8_fp8 v[12:15], a[102:103], a[70:71], v[12:15]// 00000000ABB0: D3F3000C 1C328D66
	v_fma_f32 v112, v8, v4, v112                               // 00000000ABB8: D1CB0070 05C20908
	v_fma_f32 v113, v9, v4, v113                               // 00000000ABC0: D1CB0071 05C60909
	v_fma_f32 v114, v10, v4, v114                              // 00000000ABC8: D1CB0072 05CA090A
	v_fma_f32 v115, v11, v4, v115                              // 00000000ABD0: D1CB0073 05CE090B
	v_mul_f32_dpp v4, v24, v47 row_newbcast:1 row_mask:0xf bank_mask:0xf// 00000000ABD8: 0A085EFA FF015118
	v_mfma_f32_16x16x32_fp8_fp8 v[8:11], a[96:97], a[72:73], 0 // 00000000ABE0: D3F30008 1A029160
	buffer_load_dword v42, v32, s[28:31], 0 offen              // 00000000ABE8: E0501000 80072A20
	v_mfma_f32_16x16x32_fp8_fp8 v[8:11], a[98:99], a[74:75], v[8:11]// 00000000ABF0: D3F30008 1C229562
	v_mfma_f32_16x16x32_fp8_fp8 v[8:11], a[100:101], a[76:77], v[8:11]// 00000000ABF8: D3F30008 1C229964
	v_mfma_f32_16x16x32_fp8_fp8 v[8:11], a[102:103], a[78:79], v[8:11]// 00000000AC00: D3F30008 1C229D66
	v_fma_f32 v116, v12, v6, v116                              // 00000000AC08: D1CB0074 05D20D0C
	v_fma_f32 v117, v13, v6, v117                              // 00000000AC10: D1CB0075 05D60D0D
	v_fma_f32 v118, v14, v6, v118                              // 00000000AC18: D1CB0076 05DA0D0E
	v_fma_f32 v119, v15, v6, v119                              // 00000000AC20: D1CB0077 05DE0D0F
	s_waitcnt vmcnt(24)                                        // 00000000AC28: BF8C4F78
	v_mul_f32_dpp v6, v24, v43 row_newbcast:1 row_mask:0xf bank_mask:0xf// 00000000AC2C: 0A0C56FA FF015118
	v_mfma_f32_16x16x32_fp8_fp8 v[12:15], a[104:105], a[40:41], 0// 00000000AC34: D3F3000C 1A025168
	v_mfma_f32_16x16x32_fp8_fp8 v[12:15], a[106:107], a[42:43], v[12:15]// 00000000AC3C: D3F3000C 1C32556A
	v_mfma_f32_16x16x32_fp8_fp8 v[12:15], a[108:109], a[44:45], v[12:15]// 00000000AC44: D3F3000C 1C32596C
	v_mfma_f32_16x16x32_fp8_fp8 v[12:15], a[110:111], a[46:47], v[12:15]// 00000000AC4C: D3F3000C 1C325D6E
	v_fma_f32 v120, v8, v4, v120                               // 00000000AC54: D1CB0078 05E20908
	v_fma_f32 v121, v9, v4, v121                               // 00000000AC5C: D1CB0079 05E60909
	v_fma_f32 v122, v10, v4, v122                              // 00000000AC64: D1CB007A 05EA090A
	v_fma_f32 v123, v11, v4, v123                              // 00000000AC6C: D1CB007B 05EE090B
	v_mul_f32_dpp v4, v24, v44 row_newbcast:1 row_mask:0xf bank_mask:0xf// 00000000AC74: 0A0858FA FF015118
	v_mfma_f32_16x16x32_fp8_fp8 v[8:11], a[104:105], a[48:49], 0// 00000000AC7C: D3F30008 1A026168
	v_mfma_f32_16x16x32_fp8_fp8 v[8:11], a[106:107], a[50:51], v[8:11]// 00000000AC84: D3F30008 1C22656A
	v_mfma_f32_16x16x32_fp8_fp8 v[8:11], a[108:109], a[52:53], v[8:11]// 00000000AC8C: D3F30008 1C22696C
	v_mfma_f32_16x16x32_fp8_fp8 v[8:11], a[110:111], a[54:55], v[8:11]// 00000000AC94: D3F30008 1C226D6E
	v_fma_f32 v124, v12, v6, v124                              // 00000000AC9C: D1CB007C 05F20D0C
	v_fma_f32 v125, v13, v6, v125                              // 00000000ACA4: D1CB007D 05F60D0D
	v_fma_f32 v126, v14, v6, v126                              // 00000000ACAC: D1CB007E 05FA0D0E
	v_fma_f32 v127, v15, v6, v127                              // 00000000ACB4: D1CB007F 05FE0D0F
	v_mul_f32_dpp v6, v24, v45 row_newbcast:1 row_mask:0xf bank_mask:0xf// 00000000ACBC: 0A0C5AFA FF015118
	v_mfma_f32_16x16x32_fp8_fp8 v[12:15], a[104:105], a[56:57], 0// 00000000ACC4: D3F3000C 1A027168
	v_mfma_f32_16x16x32_fp8_fp8 v[12:15], a[106:107], a[58:59], v[12:15]// 00000000ACCC: D3F3000C 1C32756A
	v_mfma_f32_16x16x32_fp8_fp8 v[12:15], a[108:109], a[60:61], v[12:15]// 00000000ACD4: D3F3000C 1C32796C
	v_mfma_f32_16x16x32_fp8_fp8 v[12:15], a[110:111], a[62:63], v[12:15]// 00000000ACDC: D3F3000C 1C327D6E
	v_fma_f32 v128, v8, v4, v128                               // 00000000ACE4: D1CB0080 06020908
	v_fma_f32 v129, v9, v4, v129                               // 00000000ACEC: D1CB0081 06060909
	v_fma_f32 v130, v10, v4, v130                              // 00000000ACF4: D1CB0082 060A090A
	v_fma_f32 v131, v11, v4, v131                              // 00000000ACFC: D1CB0083 060E090B
	v_mul_f32_dpp v4, v24, v46 row_newbcast:1 row_mask:0xf bank_mask:0xf// 00000000AD04: 0A085CFA FF015118
	v_mfma_f32_16x16x32_fp8_fp8 v[8:11], a[104:105], a[64:65], 0// 00000000AD0C: D3F30008 1A028168
	v_mfma_f32_16x16x32_fp8_fp8 v[8:11], a[106:107], a[66:67], v[8:11]// 00000000AD14: D3F30008 1C22856A
	v_mfma_f32_16x16x32_fp8_fp8 v[8:11], a[108:109], a[68:69], v[8:11]// 00000000AD1C: D3F30008 1C22896C
	v_mfma_f32_16x16x32_fp8_fp8 v[8:11], a[110:111], a[70:71], v[8:11]// 00000000AD24: D3F30008 1C228D6E
	v_fma_f32 v132, v12, v6, v132                              // 00000000AD2C: D1CB0084 06120D0C
	v_fma_f32 v133, v13, v6, v133                              // 00000000AD34: D1CB0085 06160D0D
	v_fma_f32 v134, v14, v6, v134                              // 00000000AD3C: D1CB0086 061A0D0E
	v_fma_f32 v135, v15, v6, v135                              // 00000000AD44: D1CB0087 061E0D0F
	v_mul_f32_dpp v6, v24, v47 row_newbcast:1 row_mask:0xf bank_mask:0xf// 00000000AD4C: 0A0C5EFA FF015118
	v_mfma_f32_16x16x32_fp8_fp8 v[12:15], a[104:105], a[72:73], 0// 00000000AD54: D3F3000C 1A029168
	v_mfma_f32_16x16x32_fp8_fp8 v[12:15], a[106:107], a[74:75], v[12:15]// 00000000AD5C: D3F3000C 1C32956A
	s_add_u32 s60, 0x80, s80                                   // 00000000AD64: 803C50FF 00000080
	s_cmp_lt_u32 s60, s81                                      // 00000000AD6C: BF0A513C
	s_cselect_b32 s83, s83, 0                                  // 00000000AD70: 85538053
	s_cselect_b32 s4, s4, 0                                    // 00000000AD74: 85048004
	v_mfma_f32_16x16x32_fp8_fp8 v[12:15], a[108:109], a[76:77], v[12:15]// 00000000AD78: D3F3000C 1C32996C
	s_add_u32 s32, s4, s32                                     // 00000000AD80: 80202004
	s_addc_u32 s33, 0, s33                                     // 00000000AD84: 82212180
	v_mfma_f32_16x16x32_fp8_fp8 v[12:15], a[110:111], a[78:79], v[12:15]// 00000000AD88: D3F3000C 1C329D6E
	v_fma_f32 v136, v8, v4, v136                               // 00000000AD90: D1CB0088 06220908
	v_fma_f32 v137, v9, v4, v137                               // 00000000AD98: D1CB0089 06260909
	v_fma_f32 v138, v10, v4, v138                              // 00000000ADA0: D1CB008A 062A090A
	v_fma_f32 v139, v11, v4, v139                              // 00000000ADA8: D1CB008B 062E090B
	v_fma_f32 v140, v12, v6, v140                              // 00000000ADB0: D1CB008C 06320D0C
	v_fma_f32 v141, v13, v6, v141                              // 00000000ADB8: D1CB008D 06360D0D
	v_fma_f32 v142, v14, v6, v142                              // 00000000ADC0: D1CB008E 063A0D0E
	v_fma_f32 v143, v15, v6, v143                              // 00000000ADC8: D1CB008F 063E0D0F
	s_waitcnt vmcnt(15)                                        // 00000000ADD0: BF8C0F7F
	v_mul_f32_dpp v4, v27, v43 row_newbcast:0 row_mask:0xf bank_mask:0xf// 00000000ADD4: 0A0856FA FF01501B
	v_mfma_f32_16x16x32_fp8_fp8 v[8:11], a[112:113], a[40:41], 0// 00000000ADDC: D3F30008 1A025170
	buffer_load_dword v24, v22, s[32:35], 0 offen              // 00000000ADE4: E0501000 80081816
	buffer_load_dwordx4 a[80:83], v58, s[24:27], 0 offen       // 00000000ADEC: E05C1000 8086503A
	v_mfma_f32_16x16x32_fp8_fp8 v[8:11], a[114:115], a[42:43], v[8:11]// 00000000ADF4: D3F30008 1C225572
	v_mfma_f32_16x16x32_fp8_fp8 v[8:11], a[116:117], a[44:45], v[8:11]// 00000000ADFC: D3F30008 1C225974
	ds_read_b128 a[0:3], v2                                    // 00000000AE04: DBFE0000 00000002
	ds_read_b128 a[4:7], v2 offset:64                          // 00000000AE0C: DBFE0040 04000002
	v_mfma_f32_16x16x32_fp8_fp8 v[8:11], a[118:119], a[46:47], v[8:11]// 00000000AE14: D3F30008 1C225D76
	v_mfma_f32_16x16x32_fp8_fp8 v[12:15], a[120:121], a[40:41], 0// 00000000AE1C: D3F3000C 1A025178
	buffer_load_dwordx4 a[84:87], v58, s[24:27], 0 offen offset:1024// 00000000AE24: E05C1400 8086543A
	v_mfma_f32_16x16x32_fp8_fp8 v[12:15], a[122:123], a[42:43], v[12:15]// 00000000AE2C: D3F3000C 1C32557A
	v_mfma_f32_16x16x32_fp8_fp8 v[12:15], a[124:125], a[44:45], v[12:15]// 00000000AE34: D3F3000C 1C32597C
	ds_read_b128 a[8:11], v2 offset:512                        // 00000000AE3C: DBFE0200 08000002
	ds_read_b128 a[12:15], v2 offset:576                       // 00000000AE44: DBFE0240 0C000002
	v_mfma_f32_16x16x32_fp8_fp8 v[12:15], a[126:127], a[46:47], v[12:15]// 00000000AE4C: D3F3000C 1C325D7E
	v_fma_f32 v144, v8, v4, v144                               // 00000000AE54: D1CB0090 06420908
	v_fma_f32 v145, v9, v4, v145                               // 00000000AE5C: D1CB0091 06460909
	v_fma_f32 v146, v10, v4, v146                              // 00000000AE64: D1CB0092 064A090A
	v_fma_f32 v147, v11, v4, v147                              // 00000000AE6C: D1CB0093 064E090B
	v_mul_f32_dpp v6, v27, v43 row_newbcast:1 row_mask:0xf bank_mask:0xf// 00000000AE74: 0A0C56FA FF01511B
	v_mfma_f32_16x16x32_fp8_fp8 v[8:11], a[128:129], a[40:41], 0// 00000000AE7C: D3F30008 1A025180
	buffer_load_dwordx4 a[88:91], v59, s[24:27], 0 offen       // 00000000AE84: E05C1000 8086583B
	v_mfma_f32_16x16x32_fp8_fp8 v[8:11], a[130:131], a[42:43], v[8:11]// 00000000AE8C: D3F30008 1C225582
	v_mfma_f32_16x16x32_fp8_fp8 v[8:11], a[132:133], a[44:45], v[8:11]// 00000000AE94: D3F30008 1C225984
	ds_read_b128 a[16:19], v2 offset:1024                      // 00000000AE9C: DBFE0400 10000002
	ds_read_b128 a[20:23], v2 offset:1088                      // 00000000AEA4: DBFE0440 14000002
	v_mfma_f32_16x16x32_fp8_fp8 v[8:11], a[134:135], a[46:47], v[8:11]// 00000000AEAC: D3F30008 1C225D86
	v_fma_f32 v164, v12, v4, v164                              // 00000000AEB4: D1CB00A4 0692090C
	v_fma_f32 v165, v13, v4, v165                              // 00000000AEBC: D1CB00A5 0696090D
	v_fma_f32 v166, v14, v4, v166                              // 00000000AEC4: D1CB00A6 069A090E
	v_fma_f32 v167, v15, v4, v167                              // 00000000AECC: D1CB00A7 069E090F
	v_mfma_f32_16x16x32_fp8_fp8 v[12:15], a[136:137], a[40:41], 0// 00000000AED4: D3F3000C 1A025188
	buffer_load_dwordx4 a[92:95], v59, s[24:27], 0 offen offset:1024// 00000000AEDC: E05C1400 80865C3B
	v_mfma_f32_16x16x32_fp8_fp8 v[12:15], a[138:139], a[42:43], v[12:15]// 00000000AEE4: D3F3000C 1C32558A
	v_mfma_f32_16x16x32_fp8_fp8 v[12:15], a[140:141], a[44:45], v[12:15]// 00000000AEEC: D3F3000C 1C32598C
	ds_read_b128 a[24:27], v2 offset:1536                      // 00000000AEF4: DBFE0600 18000002
	ds_read_b128 a[28:31], v2 offset:1600                      // 00000000AEFC: DBFE0640 1C000002
	v_mfma_f32_16x16x32_fp8_fp8 v[12:15], a[142:143], a[46:47], v[12:15]// 00000000AF04: D3F3000C 1C325D8E
	v_fma_f32 v184, v8, v6, v184                               // 00000000AF0C: D1CB00B8 06E20D08
	v_fma_f32 v185, v9, v6, v185                               // 00000000AF14: D1CB00B9 06E60D09
	v_fma_f32 v186, v10, v6, v186                              // 00000000AF1C: D1CB00BA 06EA0D0A
	v_fma_f32 v187, v11, v6, v187                              // 00000000AF24: D1CB00BB 06EE0D0B
	v_mul_f32_dpp v4, v27, v44 row_newbcast:0 row_mask:0xf bank_mask:0xf// 00000000AF2C: 0A0858FA FF01501B
	v_mfma_f32_16x16x32_fp8_fp8 v[8:11], a[112:113], a[48:49], 0// 00000000AF34: D3F30008 1A026170
	buffer_load_dwordx4 a[96:99], v60, s[24:27], 0 offen       // 00000000AF3C: E05C1000 8086603C
	v_mfma_f32_16x16x32_fp8_fp8 v[8:11], a[114:115], a[50:51], v[8:11]// 00000000AF44: D3F30008 1C226572
	v_mfma_f32_16x16x32_fp8_fp8 v[8:11], a[116:117], a[52:53], v[8:11]// 00000000AF4C: D3F30008 1C226974
	ds_read_b128 a[32:35], v2 offset:2048                      // 00000000AF54: DBFE0800 20000002
	ds_read_b128 a[36:39], v2 offset:2112                      // 00000000AF5C: DBFE0840 24000002
	v_mfma_f32_16x16x32_fp8_fp8 v[8:11], a[118:119], a[54:55], v[8:11]// 00000000AF64: D3F30008 1C226D76
	v_fma_f32 v204, v12, v6, v204                              // 00000000AF6C: D1CB00CC 07320D0C
	v_fma_f32 v205, v13, v6, v205                              // 00000000AF74: D1CB00CD 07360D0D
	v_fma_f32 v206, v14, v6, v206                              // 00000000AF7C: D1CB00CE 073A0D0E
	v_fma_f32 v207, v15, v6, v207                              // 00000000AF84: D1CB00CF 073E0D0F
	v_mfma_f32_16x16x32_fp8_fp8 v[12:15], a[120:121], a[48:49], 0// 00000000AF8C: D3F3000C 1A026178
	buffer_load_dwordx4 a[100:103], v60, s[24:27], 0 offen offset:1024// 00000000AF94: E05C1400 8086643C
	v_mfma_f32_16x16x32_fp8_fp8 v[12:15], a[122:123], a[50:51], v[12:15]// 00000000AF9C: D3F3000C 1C32657A
	v_mfma_f32_16x16x32_fp8_fp8 v[12:15], a[124:125], a[52:53], v[12:15]// 00000000AFA4: D3F3000C 1C32697C
	v_mfma_f32_16x16x32_fp8_fp8 v[12:15], a[126:127], a[54:55], v[12:15]// 00000000AFAC: D3F3000C 1C326D7E
	v_fma_f32 v148, v8, v4, v148                               // 00000000AFB4: D1CB0094 06520908
	v_fma_f32 v149, v9, v4, v149                               // 00000000AFBC: D1CB0095 06560909
	v_fma_f32 v150, v10, v4, v150                              // 00000000AFC4: D1CB0096 065A090A
	v_fma_f32 v151, v11, v4, v151                              // 00000000AFCC: D1CB0097 065E090B
	v_mul_f32_dpp v6, v27, v44 row_newbcast:1 row_mask:0xf bank_mask:0xf// 00000000AFD4: 0A0C58FA FF01511B
	v_mfma_f32_16x16x32_fp8_fp8 v[8:11], a[128:129], a[48:49], 0// 00000000AFDC: D3F30008 1A026180
	buffer_load_dwordx4 a[104:107], v61, s[24:27], 0 offen     // 00000000AFE4: E05C1000 8086683D
	v_mfma_f32_16x16x32_fp8_fp8 v[8:11], a[130:131], a[50:51], v[8:11]// 00000000AFEC: D3F30008 1C226582
	v_mfma_f32_16x16x32_fp8_fp8 v[8:11], a[132:133], a[52:53], v[8:11]// 00000000AFF4: D3F30008 1C226984
	v_mfma_f32_16x16x32_fp8_fp8 v[8:11], a[134:135], a[54:55], v[8:11]// 00000000AFFC: D3F30008 1C226D86
	v_fma_f32 v168, v12, v4, v168                              // 00000000B004: D1CB00A8 06A2090C
	v_fma_f32 v169, v13, v4, v169                              // 00000000B00C: D1CB00A9 06A6090D
	v_fma_f32 v170, v14, v4, v170                              // 00000000B014: D1CB00AA 06AA090E
	v_fma_f32 v171, v15, v4, v171                              // 00000000B01C: D1CB00AB 06AE090F
	v_mfma_f32_16x16x32_fp8_fp8 v[12:15], a[136:137], a[48:49], 0// 00000000B024: D3F3000C 1A026188
	buffer_load_dwordx4 a[108:111], v61, s[24:27], 0 offen offset:1024// 00000000B02C: E05C1400 80866C3D
	v_mfma_f32_16x16x32_fp8_fp8 v[12:15], a[138:139], a[50:51], v[12:15]// 00000000B034: D3F3000C 1C32658A
	v_mfma_f32_16x16x32_fp8_fp8 v[12:15], a[140:141], a[52:53], v[12:15]// 00000000B03C: D3F3000C 1C32698C
	v_mfma_f32_16x16x32_fp8_fp8 v[12:15], a[142:143], a[54:55], v[12:15]// 00000000B044: D3F3000C 1C326D8E
	v_fma_f32 v188, v8, v6, v188                               // 00000000B04C: D1CB00BC 06F20D08
	v_fma_f32 v189, v9, v6, v189                               // 00000000B054: D1CB00BD 06F60D09
	v_fma_f32 v190, v10, v6, v190                              // 00000000B05C: D1CB00BE 06FA0D0A
	v_fma_f32 v191, v11, v6, v191                              // 00000000B064: D1CB00BF 06FE0D0B
	v_mul_f32_dpp v4, v27, v45 row_newbcast:0 row_mask:0xf bank_mask:0xf// 00000000B06C: 0A085AFA FF01501B
	v_mfma_f32_16x16x32_fp8_fp8 v[8:11], a[112:113], a[56:57], 0// 00000000B074: D3F30008 1A027170
	v_mfma_f32_16x16x32_fp8_fp8 v[8:11], a[114:115], a[58:59], v[8:11]// 00000000B07C: D3F30008 1C227572
	v_mfma_f32_16x16x32_fp8_fp8 v[8:11], a[116:117], a[60:61], v[8:11]// 00000000B084: D3F30008 1C227974
	v_mfma_f32_16x16x32_fp8_fp8 v[8:11], a[118:119], a[62:63], v[8:11]// 00000000B08C: D3F30008 1C227D76
	v_fma_f32 v208, v12, v6, v208                              // 00000000B094: D1CB00D0 07420D0C
	v_fma_f32 v209, v13, v6, v209                              // 00000000B09C: D1CB00D1 07460D0D
	v_fma_f32 v210, v14, v6, v210                              // 00000000B0A4: D1CB00D2 074A0D0E
	v_fma_f32 v211, v15, v6, v211                              // 00000000B0AC: D1CB00D3 074E0D0F
	v_mfma_f32_16x16x32_fp8_fp8 v[12:15], a[120:121], a[56:57], 0// 00000000B0B4: D3F3000C 1A027178
	v_mfma_f32_16x16x32_fp8_fp8 v[12:15], a[122:123], a[58:59], v[12:15]// 00000000B0BC: D3F3000C 1C32757A
	v_mfma_f32_16x16x32_fp8_fp8 v[12:15], a[124:125], a[60:61], v[12:15]// 00000000B0C4: D3F3000C 1C32797C
	v_mfma_f32_16x16x32_fp8_fp8 v[12:15], a[126:127], a[62:63], v[12:15]// 00000000B0CC: D3F3000C 1C327D7E
	v_fma_f32 v152, v8, v4, v152                               // 00000000B0D4: D1CB0098 06620908
	v_fma_f32 v153, v9, v4, v153                               // 00000000B0DC: D1CB0099 06660909
	v_fma_f32 v154, v10, v4, v154                              // 00000000B0E4: D1CB009A 066A090A
	v_fma_f32 v155, v11, v4, v155                              // 00000000B0EC: D1CB009B 066E090B
	v_mul_f32_dpp v6, v27, v45 row_newbcast:1 row_mask:0xf bank_mask:0xf// 00000000B0F4: 0A0C5AFA FF01511B
	v_mfma_f32_16x16x32_fp8_fp8 v[8:11], a[128:129], a[56:57], 0// 00000000B0FC: D3F30008 1A027180
	v_mfma_f32_16x16x32_fp8_fp8 v[8:11], a[130:131], a[58:59], v[8:11]// 00000000B104: D3F30008 1C227582
	v_mfma_f32_16x16x32_fp8_fp8 v[8:11], a[132:133], a[60:61], v[8:11]// 00000000B10C: D3F30008 1C227984
	v_mfma_f32_16x16x32_fp8_fp8 v[8:11], a[134:135], a[62:63], v[8:11]// 00000000B114: D3F30008 1C227D86
	v_fma_f32 v172, v12, v4, v172                              // 00000000B11C: D1CB00AC 06B2090C
	v_fma_f32 v173, v13, v4, v173                              // 00000000B124: D1CB00AD 06B6090D
	v_fma_f32 v174, v14, v4, v174                              // 00000000B12C: D1CB00AE 06BA090E
	v_fma_f32 v175, v15, v4, v175                              // 00000000B134: D1CB00AF 06BE090F
	v_mfma_f32_16x16x32_fp8_fp8 v[12:15], a[136:137], a[56:57], 0// 00000000B13C: D3F3000C 1A027188
	v_mfma_f32_16x16x32_fp8_fp8 v[12:15], a[138:139], a[58:59], v[12:15]// 00000000B144: D3F3000C 1C32758A
	v_mfma_f32_16x16x32_fp8_fp8 v[12:15], a[140:141], a[60:61], v[12:15]// 00000000B14C: D3F3000C 1C32798C
	v_mfma_f32_16x16x32_fp8_fp8 v[12:15], a[142:143], a[62:63], v[12:15]// 00000000B154: D3F3000C 1C327D8E
	v_fma_f32 v192, v8, v6, v192                               // 00000000B15C: D1CB00C0 07020D08
	v_fma_f32 v193, v9, v6, v193                               // 00000000B164: D1CB00C1 07060D09
	v_fma_f32 v194, v10, v6, v194                              // 00000000B16C: D1CB00C2 070A0D0A
	v_fma_f32 v195, v11, v6, v195                              // 00000000B174: D1CB00C3 070E0D0B
	v_mul_f32_dpp v4, v27, v46 row_newbcast:0 row_mask:0xf bank_mask:0xf// 00000000B17C: 0A085CFA FF01501B
	v_mfma_f32_16x16x32_fp8_fp8 v[8:11], a[112:113], a[64:65], 0// 00000000B184: D3F30008 1A028170
	v_mfma_f32_16x16x32_fp8_fp8 v[8:11], a[114:115], a[66:67], v[8:11]// 00000000B18C: D3F30008 1C228572
	v_mfma_f32_16x16x32_fp8_fp8 v[8:11], a[116:117], a[68:69], v[8:11]// 00000000B194: D3F30008 1C228974
	v_mfma_f32_16x16x32_fp8_fp8 v[8:11], a[118:119], a[70:71], v[8:11]// 00000000B19C: D3F30008 1C228D76
	v_fma_f32 v212, v12, v6, v212                              // 00000000B1A4: D1CB00D4 07520D0C
	v_fma_f32 v213, v13, v6, v213                              // 00000000B1AC: D1CB00D5 07560D0D
	v_fma_f32 v214, v14, v6, v214                              // 00000000B1B4: D1CB00D6 075A0D0E
	v_fma_f32 v215, v15, v6, v215                              // 00000000B1BC: D1CB00D7 075E0D0F
	v_mfma_f32_16x16x32_fp8_fp8 v[12:15], a[120:121], a[64:65], 0// 00000000B1C4: D3F3000C 1A028178
	v_mfma_f32_16x16x32_fp8_fp8 v[12:15], a[122:123], a[66:67], v[12:15]// 00000000B1CC: D3F3000C 1C32857A
	v_mfma_f32_16x16x32_fp8_fp8 v[12:15], a[124:125], a[68:69], v[12:15]// 00000000B1D4: D3F3000C 1C32897C
	v_mfma_f32_16x16x32_fp8_fp8 v[12:15], a[126:127], a[70:71], v[12:15]// 00000000B1DC: D3F3000C 1C328D7E
	v_fma_f32 v156, v8, v4, v156                               // 00000000B1E4: D1CB009C 06720908
	v_fma_f32 v157, v9, v4, v157                               // 00000000B1EC: D1CB009D 06760909
	v_fma_f32 v158, v10, v4, v158                              // 00000000B1F4: D1CB009E 067A090A
	v_fma_f32 v159, v11, v4, v159                              // 00000000B1FC: D1CB009F 067E090B
	v_mul_f32_dpp v6, v27, v46 row_newbcast:1 row_mask:0xf bank_mask:0xf// 00000000B204: 0A0C5CFA FF01511B
	v_mfma_f32_16x16x32_fp8_fp8 v[8:11], a[128:129], a[64:65], 0// 00000000B20C: D3F30008 1A028180
	v_mfma_f32_16x16x32_fp8_fp8 v[8:11], a[130:131], a[66:67], v[8:11]// 00000000B214: D3F30008 1C228582
	v_mfma_f32_16x16x32_fp8_fp8 v[8:11], a[132:133], a[68:69], v[8:11]// 00000000B21C: D3F30008 1C228984
	v_mfma_f32_16x16x32_fp8_fp8 v[8:11], a[134:135], a[70:71], v[8:11]// 00000000B224: D3F30008 1C228D86
	v_fma_f32 v176, v12, v4, v176                              // 00000000B22C: D1CB00B0 06C2090C
	v_fma_f32 v177, v13, v4, v177                              // 00000000B234: D1CB00B1 06C6090D
	v_fma_f32 v178, v14, v4, v178                              // 00000000B23C: D1CB00B2 06CA090E
	v_fma_f32 v179, v15, v4, v179                              // 00000000B244: D1CB00B3 06CE090F
	v_mfma_f32_16x16x32_fp8_fp8 v[12:15], a[136:137], a[64:65], 0// 00000000B24C: D3F3000C 1A028188
	v_mfma_f32_16x16x32_fp8_fp8 v[12:15], a[138:139], a[66:67], v[12:15]// 00000000B254: D3F3000C 1C32858A
	v_mfma_f32_16x16x32_fp8_fp8 v[12:15], a[140:141], a[68:69], v[12:15]// 00000000B25C: D3F3000C 1C32898C
	v_mfma_f32_16x16x32_fp8_fp8 v[12:15], a[142:143], a[70:71], v[12:15]// 00000000B264: D3F3000C 1C328D8E
	v_fma_f32 v196, v8, v6, v196                               // 00000000B26C: D1CB00C4 07120D08
	v_fma_f32 v197, v9, v6, v197                               // 00000000B274: D1CB00C5 07160D09
	v_fma_f32 v198, v10, v6, v198                              // 00000000B27C: D1CB00C6 071A0D0A
	v_fma_f32 v199, v11, v6, v199                              // 00000000B284: D1CB00C7 071E0D0B
	v_mul_f32_dpp v4, v27, v47 row_newbcast:0 row_mask:0xf bank_mask:0xf// 00000000B28C: 0A085EFA FF01501B
	v_mfma_f32_16x16x32_fp8_fp8 v[8:11], a[112:113], a[72:73], 0// 00000000B294: D3F30008 1A029170
	v_mfma_f32_16x16x32_fp8_fp8 v[8:11], a[114:115], a[74:75], v[8:11]// 00000000B29C: D3F30008 1C229572
	v_mfma_f32_16x16x32_fp8_fp8 v[8:11], a[116:117], a[76:77], v[8:11]// 00000000B2A4: D3F30008 1C229974
	v_mfma_f32_16x16x32_fp8_fp8 v[8:11], a[118:119], a[78:79], v[8:11]// 00000000B2AC: D3F30008 1C229D76
	v_fma_f32 v216, v12, v6, v216                              // 00000000B2B4: D1CB00D8 07620D0C
	v_fma_f32 v217, v13, v6, v217                              // 00000000B2BC: D1CB00D9 07660D0D
	v_fma_f32 v218, v14, v6, v218                              // 00000000B2C4: D1CB00DA 076A0D0E
	v_fma_f32 v219, v15, v6, v219                              // 00000000B2CC: D1CB00DB 076E0D0F
	v_mfma_f32_16x16x32_fp8_fp8 v[12:15], a[120:121], a[72:73], 0// 00000000B2D4: D3F3000C 1A029178
	v_mfma_f32_16x16x32_fp8_fp8 v[12:15], a[122:123], a[74:75], v[12:15]// 00000000B2DC: D3F3000C 1C32957A
	v_mfma_f32_16x16x32_fp8_fp8 v[12:15], a[124:125], a[76:77], v[12:15]// 00000000B2E4: D3F3000C 1C32997C
	v_mfma_f32_16x16x32_fp8_fp8 v[12:15], a[126:127], a[78:79], v[12:15]// 00000000B2EC: D3F3000C 1C329D7E
	v_fma_f32 v160, v8, v4, v160                               // 00000000B2F4: D1CB00A0 06820908
	v_fma_f32 v161, v9, v4, v161                               // 00000000B2FC: D1CB00A1 06860909
	v_fma_f32 v162, v10, v4, v162                              // 00000000B304: D1CB00A2 068A090A
	v_fma_f32 v163, v11, v4, v163                              // 00000000B30C: D1CB00A3 068E090B
	v_mul_f32_dpp v6, v27, v47 row_newbcast:1 row_mask:0xf bank_mask:0xf// 00000000B314: 0A0C5EFA FF01511B
	v_mfma_f32_16x16x32_fp8_fp8 v[8:11], a[128:129], a[72:73], 0// 00000000B31C: D3F30008 1A029180
	v_mfma_f32_16x16x32_fp8_fp8 v[8:11], a[130:131], a[74:75], v[8:11]// 00000000B324: D3F30008 1C229582
	v_mfma_f32_16x16x32_fp8_fp8 v[8:11], a[132:133], a[76:77], v[8:11]// 00000000B32C: D3F30008 1C229984
	s_add_u32 s60, 0x180, s80                                  // 00000000B334: 803C50FF 00000180
	s_cmp_lt_u32 s60, s81                                      // 00000000B33C: BF0A513C
	s_cselect_b32 s57, s57, 0                                  // 00000000B340: 85398039
	s_cselect_b32 s3, s3, 0                                    // 00000000B344: 85038003
	v_mfma_f32_16x16x32_fp8_fp8 v[8:11], a[134:135], a[78:79], v[8:11]// 00000000B348: D3F30008 1C229D86
	s_add_u32 s60, 0x100, s80                                  // 00000000B350: 803C50FF 00000100
	s_cmp_lt_u32 s60, s81                                      // 00000000B358: BF0A513C
	s_cselect_b32 s58, s58, 0                                  // 00000000B35C: 853A803A
	v_fma_f32 v180, v12, v4, v180                              // 00000000B360: D1CB00B4 06D2090C
	v_fma_f32 v181, v13, v4, v181                              // 00000000B368: D1CB00B5 06D6090D
	v_fma_f32 v182, v14, v4, v182                              // 00000000B370: D1CB00B6 06DA090E
	v_fma_f32 v183, v15, v4, v183                              // 00000000B378: D1CB00B7 06DE090F
	v_mfma_f32_16x16x32_fp8_fp8 v[12:15], a[136:137], a[72:73], 0// 00000000B380: D3F3000C 1A029188
	s_add_u32 s24, s58, s24                                    // 00000000B388: 8018183A
	s_addc_u32 s25, 0, s25                                     // 00000000B38C: 82191980
	v_mfma_f32_16x16x32_fp8_fp8 v[12:15], a[138:139], a[74:75], v[12:15]// 00000000B390: D3F3000C 1C32958A
	s_add_u32 s20, s57, s20                                    // 00000000B398: 80141439
	s_addc_u32 s21, 0, s21                                     // 00000000B39C: 82151580
	s_add_u32 s28, s3, s28                                     // 00000000B3A0: 801C1C03
	s_addc_u32 s29, 0, s29                                     // 00000000B3A4: 821D1D80
	v_mfma_f32_16x16x32_fp8_fp8 v[12:15], a[140:141], a[76:77], v[12:15]// 00000000B3A8: D3F3000C 1C32998C
	s_add_u32 s84, s83, s84                                    // 00000000B3B0: 80545453
	s_addc_u32 s85, 0, s85                                     // 00000000B3B4: 82555580
	v_mfma_f32_16x16x32_fp8_fp8 v[12:15], a[142:143], a[78:79], v[12:15]// 00000000B3B8: D3F3000C 1C329D8E
	v_fma_f32 v200, v8, v6, v200                               // 00000000B3C0: D1CB00C8 07220D08
	v_fma_f32 v201, v9, v6, v201                               // 00000000B3C8: D1CB00C9 07260D09
	v_fma_f32 v202, v10, v6, v202                              // 00000000B3D0: D1CB00CA 072A0D0A
	v_fma_f32 v203, v11, v6, v203                              // 00000000B3D8: D1CB00CB 072E0D0B
	v_fma_f32 v220, v12, v6, v220                              // 00000000B3E0: D1CB00DC 07720D0C
	v_fma_f32 v221, v13, v6, v221                              // 00000000B3E8: D1CB00DD 07760D0D
	v_fma_f32 v222, v14, v6, v222                              // 00000000B3F0: D1CB00DE 077A0D0E
	v_fma_f32 v223, v15, v6, v223                              // 00000000B3F8: D1CB00DF 077E0D0F
	s_addk_i32 s80, 0x80                                       // 00000000B400: B7500080
	s_cmp_lt_i32 s80, s81                                      // 00000000B404: BF045150
	s_cbranch_scc0 label_2287                                  // 00000000B408: BF840001
	s_branch label_1BF0                                        // 00000000B40C: BF82F969

000000000000b410 <label_2287>:
	s_cmp_eq_u32 s88, 0                                        // 00000000B410: BF068058
	s_cbranch_scc0 label_2E1E                                  // 00000000B414: BF840B95
	s_cmp_eq_u32 s89, 0                                        // 00000000B418: BF068059
	s_cbranch_scc1 label_25B0                                  // 00000000B41C: BF850325
	v_mov_b32_e32 v8, v1                                       // 00000000B420: 7E100301
	v_mov_b32_e32 v9, v1                                       // 00000000B424: 7E120301
	s_mov_b32 s60, s6                                          // 00000000B428: BEBC0006
	s_mov_b32 s61, s6                                          // 00000000B42C: BEBD0006
	v_pk_mul_f32 v[4:5], v[64:65], v[64:65]                    // 00000000B430: D3B14004 18028140
	v_pk_mul_f32 v[6:7], v[66:67], v[66:67]                    // 00000000B438: D3B14006 18028542
	v_pk_fma_f32 v[4:5], v[4:5], s[78:79], v[8:9]              // 00000000B440: D3B04004 1C209D04
	v_pk_fma_f32 v[6:7], v[6:7], s[78:79], v[8:9]              // 00000000B448: D3B04006 1C209D06
	v_pk_mul_f32 v[4:5], v[4:5], v[64:65]                      // 00000000B450: D3B14004 18028104
	v_pk_mul_f32 v[6:7], v[6:7], v[66:67]                      // 00000000B458: D3B14006 18028506
	v_pk_mul_f32 v[4:5], v[4:5], s[60:61]                      // 00000000B460: D3B14004 18007904
	v_pk_mul_f32 v[6:7], v[6:7], s[60:61]                      // 00000000B468: D3B14006 18007906
	v_exp_f32_e32 v4, v4                                       // 00000000B470: 7E084104
	v_exp_f32_e32 v5, v5                                       // 00000000B474: 7E0A4105
	v_exp_f32_e32 v6, v6                                       // 00000000B478: 7E0C4106
	v_exp_f32_e32 v7, v7                                       // 00000000B47C: 7E0E4107
	v_add_f32_e64 v4, v4, 1.0                                  // 00000000B480: D1010004 0001E504
	v_add_f32_e64 v5, v5, 1.0                                  // 00000000B488: D1010005 0001E505
	v_add_f32_e64 v6, v6, 1.0                                  // 00000000B490: D1010006 0001E506
	v_add_f32_e64 v7, v7, 1.0                                  // 00000000B498: D1010007 0001E507
	v_rcp_f32_e32 v4, v4                                       // 00000000B4A0: 7E084504
	v_rcp_f32_e32 v5, v5                                       // 00000000B4A4: 7E0A4505
	v_rcp_f32_e32 v6, v6                                       // 00000000B4A8: 7E0C4506
	v_rcp_f32_e32 v7, v7                                       // 00000000B4AC: 7E0E4507
	v_mul_f32_e32 v64, v64, v4                                 // 00000000B4B0: 0A800940
	v_mul_f32_e32 v65, v65, v5                                 // 00000000B4B4: 0A820B41
	v_mul_f32_e32 v66, v66, v6                                 // 00000000B4B8: 0A840D42
	v_mul_f32_e32 v67, v67, v7                                 // 00000000B4BC: 0A860F43
	v_mul_f32_e32 v64, v64, v144                               // 00000000B4C0: 0A812140
	v_mul_f32_e32 v65, v65, v145                               // 00000000B4C4: 0A832341
	v_mul_f32_e32 v66, v66, v146                               // 00000000B4C8: 0A852542
	v_mul_f32_e32 v67, v67, v147                               // 00000000B4CC: 0A872743
	v_pk_mul_f32 v[4:5], v[68:69], v[68:69]                    // 00000000B4D0: D3B14004 18028944
	v_pk_mul_f32 v[6:7], v[70:71], v[70:71]                    // 00000000B4D8: D3B14006 18028D46
	v_pk_fma_f32 v[4:5], v[4:5], s[78:79], v[8:9]              // 00000000B4E0: D3B04004 1C209D04
	v_pk_fma_f32 v[6:7], v[6:7], s[78:79], v[8:9]              // 00000000B4E8: D3B04006 1C209D06
	v_pk_mul_f32 v[4:5], v[4:5], v[68:69]                      // 00000000B4F0: D3B14004 18028904
	v_pk_mul_f32 v[6:7], v[6:7], v[70:71]                      // 00000000B4F8: D3B14006 18028D06
	v_pk_mul_f32 v[4:5], v[4:5], s[60:61]                      // 00000000B500: D3B14004 18007904
	v_pk_mul_f32 v[6:7], v[6:7], s[60:61]                      // 00000000B508: D3B14006 18007906
	v_exp_f32_e32 v4, v4                                       // 00000000B510: 7E084104
	v_exp_f32_e32 v5, v5                                       // 00000000B514: 7E0A4105
	v_exp_f32_e32 v6, v6                                       // 00000000B518: 7E0C4106
	v_exp_f32_e32 v7, v7                                       // 00000000B51C: 7E0E4107
	v_add_f32_e64 v4, v4, 1.0                                  // 00000000B520: D1010004 0001E504
	v_add_f32_e64 v5, v5, 1.0                                  // 00000000B528: D1010005 0001E505
	v_add_f32_e64 v6, v6, 1.0                                  // 00000000B530: D1010006 0001E506
	v_add_f32_e64 v7, v7, 1.0                                  // 00000000B538: D1010007 0001E507
	v_rcp_f32_e32 v4, v4                                       // 00000000B540: 7E084504
	v_rcp_f32_e32 v5, v5                                       // 00000000B544: 7E0A4505
	v_rcp_f32_e32 v6, v6                                       // 00000000B548: 7E0C4506
	v_rcp_f32_e32 v7, v7                                       // 00000000B54C: 7E0E4507
	v_mul_f32_e32 v68, v68, v4                                 // 00000000B550: 0A880944
	v_mul_f32_e32 v69, v69, v5                                 // 00000000B554: 0A8A0B45
	v_mul_f32_e32 v70, v70, v6                                 // 00000000B558: 0A8C0D46
	v_mul_f32_e32 v71, v71, v7                                 // 00000000B55C: 0A8E0F47
	v_mul_f32_e32 v68, v68, v148                               // 00000000B560: 0A892944
	v_mul_f32_e32 v69, v69, v149                               // 00000000B564: 0A8B2B45
	v_mul_f32_e32 v70, v70, v150                               // 00000000B568: 0A8D2D46
	v_mul_f32_e32 v71, v71, v151                               // 00000000B56C: 0A8F2F47
	v_pk_mul_f32 v[4:5], v[72:73], v[72:73]                    // 00000000B570: D3B14004 18029148
	v_pk_mul_f32 v[6:7], v[74:75], v[74:75]                    // 00000000B578: D3B14006 1802954A
	v_pk_fma_f32 v[4:5], v[4:5], s[78:79], v[8:9]              // 00000000B580: D3B04004 1C209D04
	v_pk_fma_f32 v[6:7], v[6:7], s[78:79], v[8:9]              // 00000000B588: D3B04006 1C209D06
	v_pk_mul_f32 v[4:5], v[4:5], v[72:73]                      // 00000000B590: D3B14004 18029104
	v_pk_mul_f32 v[6:7], v[6:7], v[74:75]                      // 00000000B598: D3B14006 18029506
	v_pk_mul_f32 v[4:5], v[4:5], s[60:61]                      // 00000000B5A0: D3B14004 18007904
	v_pk_mul_f32 v[6:7], v[6:7], s[60:61]                      // 00000000B5A8: D3B14006 18007906
	v_exp_f32_e32 v4, v4                                       // 00000000B5B0: 7E084104
	v_exp_f32_e32 v5, v5                                       // 00000000B5B4: 7E0A4105
	v_exp_f32_e32 v6, v6                                       // 00000000B5B8: 7E0C4106
	v_exp_f32_e32 v7, v7                                       // 00000000B5BC: 7E0E4107
	v_add_f32_e64 v4, v4, 1.0                                  // 00000000B5C0: D1010004 0001E504
	v_add_f32_e64 v5, v5, 1.0                                  // 00000000B5C8: D1010005 0001E505
	v_add_f32_e64 v6, v6, 1.0                                  // 00000000B5D0: D1010006 0001E506
	v_add_f32_e64 v7, v7, 1.0                                  // 00000000B5D8: D1010007 0001E507
	v_rcp_f32_e32 v4, v4                                       // 00000000B5E0: 7E084504
	v_rcp_f32_e32 v5, v5                                       // 00000000B5E4: 7E0A4505
	v_rcp_f32_e32 v6, v6                                       // 00000000B5E8: 7E0C4506
	v_rcp_f32_e32 v7, v7                                       // 00000000B5EC: 7E0E4507
	v_mul_f32_e32 v72, v72, v4                                 // 00000000B5F0: 0A900948
	v_mul_f32_e32 v73, v73, v5                                 // 00000000B5F4: 0A920B49
	v_mul_f32_e32 v74, v74, v6                                 // 00000000B5F8: 0A940D4A
	v_mul_f32_e32 v75, v75, v7                                 // 00000000B5FC: 0A960F4B
	v_mul_f32_e32 v72, v72, v152                               // 00000000B600: 0A913148
	v_mul_f32_e32 v73, v73, v153                               // 00000000B604: 0A933349
	v_mul_f32_e32 v74, v74, v154                               // 00000000B608: 0A95354A
	v_mul_f32_e32 v75, v75, v155                               // 00000000B60C: 0A97374B
	v_pk_mul_f32 v[4:5], v[76:77], v[76:77]                    // 00000000B610: D3B14004 1802994C
	v_pk_mul_f32 v[6:7], v[78:79], v[78:79]                    // 00000000B618: D3B14006 18029D4E
	v_pk_fma_f32 v[4:5], v[4:5], s[78:79], v[8:9]              // 00000000B620: D3B04004 1C209D04
	v_pk_fma_f32 v[6:7], v[6:7], s[78:79], v[8:9]              // 00000000B628: D3B04006 1C209D06
	v_pk_mul_f32 v[4:5], v[4:5], v[76:77]                      // 00000000B630: D3B14004 18029904
	v_pk_mul_f32 v[6:7], v[6:7], v[78:79]                      // 00000000B638: D3B14006 18029D06
	v_pk_mul_f32 v[4:5], v[4:5], s[60:61]                      // 00000000B640: D3B14004 18007904
	v_pk_mul_f32 v[6:7], v[6:7], s[60:61]                      // 00000000B648: D3B14006 18007906
	v_exp_f32_e32 v4, v4                                       // 00000000B650: 7E084104
	v_exp_f32_e32 v5, v5                                       // 00000000B654: 7E0A4105
	v_exp_f32_e32 v6, v6                                       // 00000000B658: 7E0C4106
	v_exp_f32_e32 v7, v7                                       // 00000000B65C: 7E0E4107
	v_add_f32_e64 v4, v4, 1.0                                  // 00000000B660: D1010004 0001E504
	v_add_f32_e64 v5, v5, 1.0                                  // 00000000B668: D1010005 0001E505
	v_add_f32_e64 v6, v6, 1.0                                  // 00000000B670: D1010006 0001E506
	v_add_f32_e64 v7, v7, 1.0                                  // 00000000B678: D1010007 0001E507
	v_rcp_f32_e32 v4, v4                                       // 00000000B680: 7E084504
	v_rcp_f32_e32 v5, v5                                       // 00000000B684: 7E0A4505
	v_rcp_f32_e32 v6, v6                                       // 00000000B688: 7E0C4506
	v_rcp_f32_e32 v7, v7                                       // 00000000B68C: 7E0E4507
	v_mul_f32_e32 v76, v76, v4                                 // 00000000B690: 0A98094C
	v_mul_f32_e32 v77, v77, v5                                 // 00000000B694: 0A9A0B4D
	v_mul_f32_e32 v78, v78, v6                                 // 00000000B698: 0A9C0D4E
	v_mul_f32_e32 v79, v79, v7                                 // 00000000B69C: 0A9E0F4F
	v_mul_f32_e32 v76, v76, v156                               // 00000000B6A0: 0A99394C
	v_mul_f32_e32 v77, v77, v157                               // 00000000B6A4: 0A9B3B4D
	v_mul_f32_e32 v78, v78, v158                               // 00000000B6A8: 0A9D3D4E
	v_mul_f32_e32 v79, v79, v159                               // 00000000B6AC: 0A9F3F4F
	v_pk_mul_f32 v[4:5], v[80:81], v[80:81]                    // 00000000B6B0: D3B14004 1802A150
	v_pk_mul_f32 v[6:7], v[82:83], v[82:83]                    // 00000000B6B8: D3B14006 1802A552
	v_pk_fma_f32 v[4:5], v[4:5], s[78:79], v[8:9]              // 00000000B6C0: D3B04004 1C209D04
	v_pk_fma_f32 v[6:7], v[6:7], s[78:79], v[8:9]              // 00000000B6C8: D3B04006 1C209D06
	v_pk_mul_f32 v[4:5], v[4:5], v[80:81]                      // 00000000B6D0: D3B14004 1802A104
	v_pk_mul_f32 v[6:7], v[6:7], v[82:83]                      // 00000000B6D8: D3B14006 1802A506
	v_pk_mul_f32 v[4:5], v[4:5], s[60:61]                      // 00000000B6E0: D3B14004 18007904
	v_pk_mul_f32 v[6:7], v[6:7], s[60:61]                      // 00000000B6E8: D3B14006 18007906
	v_exp_f32_e32 v4, v4                                       // 00000000B6F0: 7E084104
	v_exp_f32_e32 v5, v5                                       // 00000000B6F4: 7E0A4105
	v_exp_f32_e32 v6, v6                                       // 00000000B6F8: 7E0C4106
	v_exp_f32_e32 v7, v7                                       // 00000000B6FC: 7E0E4107
	v_add_f32_e64 v4, v4, 1.0                                  // 00000000B700: D1010004 0001E504
	v_add_f32_e64 v5, v5, 1.0                                  // 00000000B708: D1010005 0001E505
	v_add_f32_e64 v6, v6, 1.0                                  // 00000000B710: D1010006 0001E506
	v_add_f32_e64 v7, v7, 1.0                                  // 00000000B718: D1010007 0001E507
	v_rcp_f32_e32 v4, v4                                       // 00000000B720: 7E084504
	v_rcp_f32_e32 v5, v5                                       // 00000000B724: 7E0A4505
	v_rcp_f32_e32 v6, v6                                       // 00000000B728: 7E0C4506
	v_rcp_f32_e32 v7, v7                                       // 00000000B72C: 7E0E4507
	v_mul_f32_e32 v80, v80, v4                                 // 00000000B730: 0AA00950
	v_mul_f32_e32 v81, v81, v5                                 // 00000000B734: 0AA20B51
	v_mul_f32_e32 v82, v82, v6                                 // 00000000B738: 0AA40D52
	v_mul_f32_e32 v83, v83, v7                                 // 00000000B73C: 0AA60F53
	v_mul_f32_e32 v80, v80, v160                               // 00000000B740: 0AA14150
	v_mul_f32_e32 v81, v81, v161                               // 00000000B744: 0AA34351
	v_mul_f32_e32 v82, v82, v162                               // 00000000B748: 0AA54552
	v_mul_f32_e32 v83, v83, v163                               // 00000000B74C: 0AA74753
	v_pk_mul_f32 v[4:5], v[84:85], v[84:85]                    // 00000000B750: D3B14004 1802A954
	v_pk_mul_f32 v[6:7], v[86:87], v[86:87]                    // 00000000B758: D3B14006 1802AD56
	v_pk_fma_f32 v[4:5], v[4:5], s[78:79], v[8:9]              // 00000000B760: D3B04004 1C209D04
	v_pk_fma_f32 v[6:7], v[6:7], s[78:79], v[8:9]              // 00000000B768: D3B04006 1C209D06
	v_pk_mul_f32 v[4:5], v[4:5], v[84:85]                      // 00000000B770: D3B14004 1802A904
	v_pk_mul_f32 v[6:7], v[6:7], v[86:87]                      // 00000000B778: D3B14006 1802AD06
	v_pk_mul_f32 v[4:5], v[4:5], s[60:61]                      // 00000000B780: D3B14004 18007904
	v_pk_mul_f32 v[6:7], v[6:7], s[60:61]                      // 00000000B788: D3B14006 18007906
	v_exp_f32_e32 v4, v4                                       // 00000000B790: 7E084104
	v_exp_f32_e32 v5, v5                                       // 00000000B794: 7E0A4105
	v_exp_f32_e32 v6, v6                                       // 00000000B798: 7E0C4106
	v_exp_f32_e32 v7, v7                                       // 00000000B79C: 7E0E4107
	v_add_f32_e64 v4, v4, 1.0                                  // 00000000B7A0: D1010004 0001E504
	v_add_f32_e64 v5, v5, 1.0                                  // 00000000B7A8: D1010005 0001E505
	v_add_f32_e64 v6, v6, 1.0                                  // 00000000B7B0: D1010006 0001E506
	v_add_f32_e64 v7, v7, 1.0                                  // 00000000B7B8: D1010007 0001E507
	v_rcp_f32_e32 v4, v4                                       // 00000000B7C0: 7E084504
	v_rcp_f32_e32 v5, v5                                       // 00000000B7C4: 7E0A4505
	v_rcp_f32_e32 v6, v6                                       // 00000000B7C8: 7E0C4506
	v_rcp_f32_e32 v7, v7                                       // 00000000B7CC: 7E0E4507
	v_mul_f32_e32 v84, v84, v4                                 // 00000000B7D0: 0AA80954
	v_mul_f32_e32 v85, v85, v5                                 // 00000000B7D4: 0AAA0B55
	v_mul_f32_e32 v86, v86, v6                                 // 00000000B7D8: 0AAC0D56
	v_mul_f32_e32 v87, v87, v7                                 // 00000000B7DC: 0AAE0F57
	v_mul_f32_e32 v84, v84, v164                               // 00000000B7E0: 0AA94954
	v_mul_f32_e32 v85, v85, v165                               // 00000000B7E4: 0AAB4B55
	v_mul_f32_e32 v86, v86, v166                               // 00000000B7E8: 0AAD4D56
	v_mul_f32_e32 v87, v87, v167                               // 00000000B7EC: 0AAF4F57
	v_pk_mul_f32 v[4:5], v[88:89], v[88:89]                    // 00000000B7F0: D3B14004 1802B158
	v_pk_mul_f32 v[6:7], v[90:91], v[90:91]                    // 00000000B7F8: D3B14006 1802B55A
	v_pk_fma_f32 v[4:5], v[4:5], s[78:79], v[8:9]              // 00000000B800: D3B04004 1C209D04
	v_pk_fma_f32 v[6:7], v[6:7], s[78:79], v[8:9]              // 00000000B808: D3B04006 1C209D06
	v_pk_mul_f32 v[4:5], v[4:5], v[88:89]                      // 00000000B810: D3B14004 1802B104
	v_pk_mul_f32 v[6:7], v[6:7], v[90:91]                      // 00000000B818: D3B14006 1802B506
	v_pk_mul_f32 v[4:5], v[4:5], s[60:61]                      // 00000000B820: D3B14004 18007904
	v_pk_mul_f32 v[6:7], v[6:7], s[60:61]                      // 00000000B828: D3B14006 18007906
	v_exp_f32_e32 v4, v4                                       // 00000000B830: 7E084104
	v_exp_f32_e32 v5, v5                                       // 00000000B834: 7E0A4105
	v_exp_f32_e32 v6, v6                                       // 00000000B838: 7E0C4106
	v_exp_f32_e32 v7, v7                                       // 00000000B83C: 7E0E4107
	v_add_f32_e64 v4, v4, 1.0                                  // 00000000B840: D1010004 0001E504
	v_add_f32_e64 v5, v5, 1.0                                  // 00000000B848: D1010005 0001E505
	v_add_f32_e64 v6, v6, 1.0                                  // 00000000B850: D1010006 0001E506
	v_add_f32_e64 v7, v7, 1.0                                  // 00000000B858: D1010007 0001E507
	v_rcp_f32_e32 v4, v4                                       // 00000000B860: 7E084504
	v_rcp_f32_e32 v5, v5                                       // 00000000B864: 7E0A4505
	v_rcp_f32_e32 v6, v6                                       // 00000000B868: 7E0C4506
	v_rcp_f32_e32 v7, v7                                       // 00000000B86C: 7E0E4507
	v_mul_f32_e32 v88, v88, v4                                 // 00000000B870: 0AB00958
	v_mul_f32_e32 v89, v89, v5                                 // 00000000B874: 0AB20B59
	v_mul_f32_e32 v90, v90, v6                                 // 00000000B878: 0AB40D5A
	v_mul_f32_e32 v91, v91, v7                                 // 00000000B87C: 0AB60F5B
	v_mul_f32_e32 v88, v88, v168                               // 00000000B880: 0AB15158
	v_mul_f32_e32 v89, v89, v169                               // 00000000B884: 0AB35359
	v_mul_f32_e32 v90, v90, v170                               // 00000000B888: 0AB5555A
	v_mul_f32_e32 v91, v91, v171                               // 00000000B88C: 0AB7575B
	v_pk_mul_f32 v[4:5], v[92:93], v[92:93]                    // 00000000B890: D3B14004 1802B95C
	v_pk_mul_f32 v[6:7], v[94:95], v[94:95]                    // 00000000B898: D3B14006 1802BD5E
	v_pk_fma_f32 v[4:5], v[4:5], s[78:79], v[8:9]              // 00000000B8A0: D3B04004 1C209D04
	v_pk_fma_f32 v[6:7], v[6:7], s[78:79], v[8:9]              // 00000000B8A8: D3B04006 1C209D06
	v_pk_mul_f32 v[4:5], v[4:5], v[92:93]                      // 00000000B8B0: D3B14004 1802B904
	v_pk_mul_f32 v[6:7], v[6:7], v[94:95]                      // 00000000B8B8: D3B14006 1802BD06
	v_pk_mul_f32 v[4:5], v[4:5], s[60:61]                      // 00000000B8C0: D3B14004 18007904
	v_pk_mul_f32 v[6:7], v[6:7], s[60:61]                      // 00000000B8C8: D3B14006 18007906
	v_exp_f32_e32 v4, v4                                       // 00000000B8D0: 7E084104
	v_exp_f32_e32 v5, v5                                       // 00000000B8D4: 7E0A4105
	v_exp_f32_e32 v6, v6                                       // 00000000B8D8: 7E0C4106
	v_exp_f32_e32 v7, v7                                       // 00000000B8DC: 7E0E4107
	v_add_f32_e64 v4, v4, 1.0                                  // 00000000B8E0: D1010004 0001E504
	v_add_f32_e64 v5, v5, 1.0                                  // 00000000B8E8: D1010005 0001E505
	v_add_f32_e64 v6, v6, 1.0                                  // 00000000B8F0: D1010006 0001E506
	v_add_f32_e64 v7, v7, 1.0                                  // 00000000B8F8: D1010007 0001E507
	v_rcp_f32_e32 v4, v4                                       // 00000000B900: 7E084504
	v_rcp_f32_e32 v5, v5                                       // 00000000B904: 7E0A4505
	v_rcp_f32_e32 v6, v6                                       // 00000000B908: 7E0C4506
	v_rcp_f32_e32 v7, v7                                       // 00000000B90C: 7E0E4507
	v_mul_f32_e32 v92, v92, v4                                 // 00000000B910: 0AB8095C
	v_mul_f32_e32 v93, v93, v5                                 // 00000000B914: 0ABA0B5D
	v_mul_f32_e32 v94, v94, v6                                 // 00000000B918: 0ABC0D5E
	v_mul_f32_e32 v95, v95, v7                                 // 00000000B91C: 0ABE0F5F
	v_mul_f32_e32 v92, v92, v172                               // 00000000B920: 0AB9595C
	v_mul_f32_e32 v93, v93, v173                               // 00000000B924: 0ABB5B5D
	v_mul_f32_e32 v94, v94, v174                               // 00000000B928: 0ABD5D5E
	v_mul_f32_e32 v95, v95, v175                               // 00000000B92C: 0ABF5F5F
	v_pk_mul_f32 v[4:5], v[96:97], v[96:97]                    // 00000000B930: D3B14004 1802C160
	v_pk_mul_f32 v[6:7], v[98:99], v[98:99]                    // 00000000B938: D3B14006 1802C562
	v_pk_fma_f32 v[4:5], v[4:5], s[78:79], v[8:9]              // 00000000B940: D3B04004 1C209D04
	v_pk_fma_f32 v[6:7], v[6:7], s[78:79], v[8:9]              // 00000000B948: D3B04006 1C209D06
	v_pk_mul_f32 v[4:5], v[4:5], v[96:97]                      // 00000000B950: D3B14004 1802C104
	v_pk_mul_f32 v[6:7], v[6:7], v[98:99]                      // 00000000B958: D3B14006 1802C506
	v_pk_mul_f32 v[4:5], v[4:5], s[60:61]                      // 00000000B960: D3B14004 18007904
	v_pk_mul_f32 v[6:7], v[6:7], s[60:61]                      // 00000000B968: D3B14006 18007906
	v_exp_f32_e32 v4, v4                                       // 00000000B970: 7E084104
	v_exp_f32_e32 v5, v5                                       // 00000000B974: 7E0A4105
	v_exp_f32_e32 v6, v6                                       // 00000000B978: 7E0C4106
	v_exp_f32_e32 v7, v7                                       // 00000000B97C: 7E0E4107
	v_add_f32_e64 v4, v4, 1.0                                  // 00000000B980: D1010004 0001E504
	v_add_f32_e64 v5, v5, 1.0                                  // 00000000B988: D1010005 0001E505
	v_add_f32_e64 v6, v6, 1.0                                  // 00000000B990: D1010006 0001E506
	v_add_f32_e64 v7, v7, 1.0                                  // 00000000B998: D1010007 0001E507
	v_rcp_f32_e32 v4, v4                                       // 00000000B9A0: 7E084504
	v_rcp_f32_e32 v5, v5                                       // 00000000B9A4: 7E0A4505
	v_rcp_f32_e32 v6, v6                                       // 00000000B9A8: 7E0C4506
	v_rcp_f32_e32 v7, v7                                       // 00000000B9AC: 7E0E4507
	v_mul_f32_e32 v96, v96, v4                                 // 00000000B9B0: 0AC00960
	v_mul_f32_e32 v97, v97, v5                                 // 00000000B9B4: 0AC20B61
	v_mul_f32_e32 v98, v98, v6                                 // 00000000B9B8: 0AC40D62
	v_mul_f32_e32 v99, v99, v7                                 // 00000000B9BC: 0AC60F63
	v_mul_f32_e32 v96, v96, v176                               // 00000000B9C0: 0AC16160
	v_mul_f32_e32 v97, v97, v177                               // 00000000B9C4: 0AC36361
	v_mul_f32_e32 v98, v98, v178                               // 00000000B9C8: 0AC56562
	v_mul_f32_e32 v99, v99, v179                               // 00000000B9CC: 0AC76763
	v_pk_mul_f32 v[4:5], v[100:101], v[100:101]                // 00000000B9D0: D3B14004 1802C964
	v_pk_mul_f32 v[6:7], v[102:103], v[102:103]                // 00000000B9D8: D3B14006 1802CD66
	v_pk_fma_f32 v[4:5], v[4:5], s[78:79], v[8:9]              // 00000000B9E0: D3B04004 1C209D04
	v_pk_fma_f32 v[6:7], v[6:7], s[78:79], v[8:9]              // 00000000B9E8: D3B04006 1C209D06
	v_pk_mul_f32 v[4:5], v[4:5], v[100:101]                    // 00000000B9F0: D3B14004 1802C904
	v_pk_mul_f32 v[6:7], v[6:7], v[102:103]                    // 00000000B9F8: D3B14006 1802CD06
	v_pk_mul_f32 v[4:5], v[4:5], s[60:61]                      // 00000000BA00: D3B14004 18007904
	v_pk_mul_f32 v[6:7], v[6:7], s[60:61]                      // 00000000BA08: D3B14006 18007906
	v_exp_f32_e32 v4, v4                                       // 00000000BA10: 7E084104
	v_exp_f32_e32 v5, v5                                       // 00000000BA14: 7E0A4105
	v_exp_f32_e32 v6, v6                                       // 00000000BA18: 7E0C4106
	v_exp_f32_e32 v7, v7                                       // 00000000BA1C: 7E0E4107
	v_add_f32_e64 v4, v4, 1.0                                  // 00000000BA20: D1010004 0001E504
	v_add_f32_e64 v5, v5, 1.0                                  // 00000000BA28: D1010005 0001E505
	v_add_f32_e64 v6, v6, 1.0                                  // 00000000BA30: D1010006 0001E506
	v_add_f32_e64 v7, v7, 1.0                                  // 00000000BA38: D1010007 0001E507
	v_rcp_f32_e32 v4, v4                                       // 00000000BA40: 7E084504
	v_rcp_f32_e32 v5, v5                                       // 00000000BA44: 7E0A4505
	v_rcp_f32_e32 v6, v6                                       // 00000000BA48: 7E0C4506
	v_rcp_f32_e32 v7, v7                                       // 00000000BA4C: 7E0E4507
	v_mul_f32_e32 v100, v100, v4                               // 00000000BA50: 0AC80964
	v_mul_f32_e32 v101, v101, v5                               // 00000000BA54: 0ACA0B65
	v_mul_f32_e32 v102, v102, v6                               // 00000000BA58: 0ACC0D66
	v_mul_f32_e32 v103, v103, v7                               // 00000000BA5C: 0ACE0F67
	v_mul_f32_e32 v100, v100, v180                             // 00000000BA60: 0AC96964
	v_mul_f32_e32 v101, v101, v181                             // 00000000BA64: 0ACB6B65
	v_mul_f32_e32 v102, v102, v182                             // 00000000BA68: 0ACD6D66
	v_mul_f32_e32 v103, v103, v183                             // 00000000BA6C: 0ACF6F67
	v_pk_mul_f32 v[4:5], v[104:105], v[104:105]                // 00000000BA70: D3B14004 1802D168
	v_pk_mul_f32 v[6:7], v[106:107], v[106:107]                // 00000000BA78: D3B14006 1802D56A
	v_pk_fma_f32 v[4:5], v[4:5], s[78:79], v[8:9]              // 00000000BA80: D3B04004 1C209D04
	v_pk_fma_f32 v[6:7], v[6:7], s[78:79], v[8:9]              // 00000000BA88: D3B04006 1C209D06
	v_pk_mul_f32 v[4:5], v[4:5], v[104:105]                    // 00000000BA90: D3B14004 1802D104
	v_pk_mul_f32 v[6:7], v[6:7], v[106:107]                    // 00000000BA98: D3B14006 1802D506
	v_pk_mul_f32 v[4:5], v[4:5], s[60:61]                      // 00000000BAA0: D3B14004 18007904
	v_pk_mul_f32 v[6:7], v[6:7], s[60:61]                      // 00000000BAA8: D3B14006 18007906
	v_exp_f32_e32 v4, v4                                       // 00000000BAB0: 7E084104
	v_exp_f32_e32 v5, v5                                       // 00000000BAB4: 7E0A4105
	v_exp_f32_e32 v6, v6                                       // 00000000BAB8: 7E0C4106
	v_exp_f32_e32 v7, v7                                       // 00000000BABC: 7E0E4107
	v_add_f32_e64 v4, v4, 1.0                                  // 00000000BAC0: D1010004 0001E504
	v_add_f32_e64 v5, v5, 1.0                                  // 00000000BAC8: D1010005 0001E505
	v_add_f32_e64 v6, v6, 1.0                                  // 00000000BAD0: D1010006 0001E506
	v_add_f32_e64 v7, v7, 1.0                                  // 00000000BAD8: D1010007 0001E507
	v_rcp_f32_e32 v4, v4                                       // 00000000BAE0: 7E084504
	v_rcp_f32_e32 v5, v5                                       // 00000000BAE4: 7E0A4505
	v_rcp_f32_e32 v6, v6                                       // 00000000BAE8: 7E0C4506
	v_rcp_f32_e32 v7, v7                                       // 00000000BAEC: 7E0E4507
	v_mul_f32_e32 v104, v104, v4                               // 00000000BAF0: 0AD00968
	v_mul_f32_e32 v105, v105, v5                               // 00000000BAF4: 0AD20B69
	v_mul_f32_e32 v106, v106, v6                               // 00000000BAF8: 0AD40D6A
	v_mul_f32_e32 v107, v107, v7                               // 00000000BAFC: 0AD60F6B
	v_mul_f32_e32 v104, v104, v184                             // 00000000BB00: 0AD17168
	v_mul_f32_e32 v105, v105, v185                             // 00000000BB04: 0AD37369
	v_mul_f32_e32 v106, v106, v186                             // 00000000BB08: 0AD5756A
	v_mul_f32_e32 v107, v107, v187                             // 00000000BB0C: 0AD7776B
	v_pk_mul_f32 v[4:5], v[108:109], v[108:109]                // 00000000BB10: D3B14004 1802D96C
	v_pk_mul_f32 v[6:7], v[110:111], v[110:111]                // 00000000BB18: D3B14006 1802DD6E
	v_pk_fma_f32 v[4:5], v[4:5], s[78:79], v[8:9]              // 00000000BB20: D3B04004 1C209D04
	v_pk_fma_f32 v[6:7], v[6:7], s[78:79], v[8:9]              // 00000000BB28: D3B04006 1C209D06
	v_pk_mul_f32 v[4:5], v[4:5], v[108:109]                    // 00000000BB30: D3B14004 1802D904
	v_pk_mul_f32 v[6:7], v[6:7], v[110:111]                    // 00000000BB38: D3B14006 1802DD06
	v_pk_mul_f32 v[4:5], v[4:5], s[60:61]                      // 00000000BB40: D3B14004 18007904
	v_pk_mul_f32 v[6:7], v[6:7], s[60:61]                      // 00000000BB48: D3B14006 18007906
	v_exp_f32_e32 v4, v4                                       // 00000000BB50: 7E084104
	v_exp_f32_e32 v5, v5                                       // 00000000BB54: 7E0A4105
	v_exp_f32_e32 v6, v6                                       // 00000000BB58: 7E0C4106
	v_exp_f32_e32 v7, v7                                       // 00000000BB5C: 7E0E4107
	v_add_f32_e64 v4, v4, 1.0                                  // 00000000BB60: D1010004 0001E504
	v_add_f32_e64 v5, v5, 1.0                                  // 00000000BB68: D1010005 0001E505
	v_add_f32_e64 v6, v6, 1.0                                  // 00000000BB70: D1010006 0001E506
	v_add_f32_e64 v7, v7, 1.0                                  // 00000000BB78: D1010007 0001E507
	v_rcp_f32_e32 v4, v4                                       // 00000000BB80: 7E084504
	v_rcp_f32_e32 v5, v5                                       // 00000000BB84: 7E0A4505
	v_rcp_f32_e32 v6, v6                                       // 00000000BB88: 7E0C4506
	v_rcp_f32_e32 v7, v7                                       // 00000000BB8C: 7E0E4507
	v_mul_f32_e32 v108, v108, v4                               // 00000000BB90: 0AD8096C
	v_mul_f32_e32 v109, v109, v5                               // 00000000BB94: 0ADA0B6D
	v_mul_f32_e32 v110, v110, v6                               // 00000000BB98: 0ADC0D6E
	v_mul_f32_e32 v111, v111, v7                               // 00000000BB9C: 0ADE0F6F
	v_mul_f32_e32 v108, v108, v188                             // 00000000BBA0: 0AD9796C
	v_mul_f32_e32 v109, v109, v189                             // 00000000BBA4: 0ADB7B6D
	v_mul_f32_e32 v110, v110, v190                             // 00000000BBA8: 0ADD7D6E
	v_mul_f32_e32 v111, v111, v191                             // 00000000BBAC: 0ADF7F6F
	v_pk_mul_f32 v[4:5], v[112:113], v[112:113]                // 00000000BBB0: D3B14004 1802E170
	v_pk_mul_f32 v[6:7], v[114:115], v[114:115]                // 00000000BBB8: D3B14006 1802E572
	v_pk_fma_f32 v[4:5], v[4:5], s[78:79], v[8:9]              // 00000000BBC0: D3B04004 1C209D04
	v_pk_fma_f32 v[6:7], v[6:7], s[78:79], v[8:9]              // 00000000BBC8: D3B04006 1C209D06
	v_pk_mul_f32 v[4:5], v[4:5], v[112:113]                    // 00000000BBD0: D3B14004 1802E104
	v_pk_mul_f32 v[6:7], v[6:7], v[114:115]                    // 00000000BBD8: D3B14006 1802E506
	v_pk_mul_f32 v[4:5], v[4:5], s[60:61]                      // 00000000BBE0: D3B14004 18007904
	v_pk_mul_f32 v[6:7], v[6:7], s[60:61]                      // 00000000BBE8: D3B14006 18007906
	v_exp_f32_e32 v4, v4                                       // 00000000BBF0: 7E084104
	v_exp_f32_e32 v5, v5                                       // 00000000BBF4: 7E0A4105
	v_exp_f32_e32 v6, v6                                       // 00000000BBF8: 7E0C4106
	v_exp_f32_e32 v7, v7                                       // 00000000BBFC: 7E0E4107
	v_add_f32_e64 v4, v4, 1.0                                  // 00000000BC00: D1010004 0001E504
	v_add_f32_e64 v5, v5, 1.0                                  // 00000000BC08: D1010005 0001E505
	v_add_f32_e64 v6, v6, 1.0                                  // 00000000BC10: D1010006 0001E506
	v_add_f32_e64 v7, v7, 1.0                                  // 00000000BC18: D1010007 0001E507
	v_rcp_f32_e32 v4, v4                                       // 00000000BC20: 7E084504
	v_rcp_f32_e32 v5, v5                                       // 00000000BC24: 7E0A4505
	v_rcp_f32_e32 v6, v6                                       // 00000000BC28: 7E0C4506
	v_rcp_f32_e32 v7, v7                                       // 00000000BC2C: 7E0E4507
	v_mul_f32_e32 v112, v112, v4                               // 00000000BC30: 0AE00970
	v_mul_f32_e32 v113, v113, v5                               // 00000000BC34: 0AE20B71
	v_mul_f32_e32 v114, v114, v6                               // 00000000BC38: 0AE40D72
	v_mul_f32_e32 v115, v115, v7                               // 00000000BC3C: 0AE60F73
	v_mul_f32_e32 v112, v112, v192                             // 00000000BC40: 0AE18170
	v_mul_f32_e32 v113, v113, v193                             // 00000000BC44: 0AE38371
	v_mul_f32_e32 v114, v114, v194                             // 00000000BC48: 0AE58572
	v_mul_f32_e32 v115, v115, v195                             // 00000000BC4C: 0AE78773
	v_pk_mul_f32 v[4:5], v[116:117], v[116:117]                // 00000000BC50: D3B14004 1802E974
	v_pk_mul_f32 v[6:7], v[118:119], v[118:119]                // 00000000BC58: D3B14006 1802ED76
	v_pk_fma_f32 v[4:5], v[4:5], s[78:79], v[8:9]              // 00000000BC60: D3B04004 1C209D04
	v_pk_fma_f32 v[6:7], v[6:7], s[78:79], v[8:9]              // 00000000BC68: D3B04006 1C209D06
	v_pk_mul_f32 v[4:5], v[4:5], v[116:117]                    // 00000000BC70: D3B14004 1802E904
	v_pk_mul_f32 v[6:7], v[6:7], v[118:119]                    // 00000000BC78: D3B14006 1802ED06
	v_pk_mul_f32 v[4:5], v[4:5], s[60:61]                      // 00000000BC80: D3B14004 18007904
	v_pk_mul_f32 v[6:7], v[6:7], s[60:61]                      // 00000000BC88: D3B14006 18007906
	v_exp_f32_e32 v4, v4                                       // 00000000BC90: 7E084104
	v_exp_f32_e32 v5, v5                                       // 00000000BC94: 7E0A4105
	v_exp_f32_e32 v6, v6                                       // 00000000BC98: 7E0C4106
	v_exp_f32_e32 v7, v7                                       // 00000000BC9C: 7E0E4107
	v_add_f32_e64 v4, v4, 1.0                                  // 00000000BCA0: D1010004 0001E504
	v_add_f32_e64 v5, v5, 1.0                                  // 00000000BCA8: D1010005 0001E505
	v_add_f32_e64 v6, v6, 1.0                                  // 00000000BCB0: D1010006 0001E506
	v_add_f32_e64 v7, v7, 1.0                                  // 00000000BCB8: D1010007 0001E507
	v_rcp_f32_e32 v4, v4                                       // 00000000BCC0: 7E084504
	v_rcp_f32_e32 v5, v5                                       // 00000000BCC4: 7E0A4505
	v_rcp_f32_e32 v6, v6                                       // 00000000BCC8: 7E0C4506
	v_rcp_f32_e32 v7, v7                                       // 00000000BCCC: 7E0E4507
	v_mul_f32_e32 v116, v116, v4                               // 00000000BCD0: 0AE80974
	v_mul_f32_e32 v117, v117, v5                               // 00000000BCD4: 0AEA0B75
	v_mul_f32_e32 v118, v118, v6                               // 00000000BCD8: 0AEC0D76
	v_mul_f32_e32 v119, v119, v7                               // 00000000BCDC: 0AEE0F77
	v_mul_f32_e32 v116, v116, v196                             // 00000000BCE0: 0AE98974
	v_mul_f32_e32 v117, v117, v197                             // 00000000BCE4: 0AEB8B75
	v_mul_f32_e32 v118, v118, v198                             // 00000000BCE8: 0AED8D76
	v_mul_f32_e32 v119, v119, v199                             // 00000000BCEC: 0AEF8F77
	v_pk_mul_f32 v[4:5], v[120:121], v[120:121]                // 00000000BCF0: D3B14004 1802F178
	v_pk_mul_f32 v[6:7], v[122:123], v[122:123]                // 00000000BCF8: D3B14006 1802F57A
	v_pk_fma_f32 v[4:5], v[4:5], s[78:79], v[8:9]              // 00000000BD00: D3B04004 1C209D04
	v_pk_fma_f32 v[6:7], v[6:7], s[78:79], v[8:9]              // 00000000BD08: D3B04006 1C209D06
	v_pk_mul_f32 v[4:5], v[4:5], v[120:121]                    // 00000000BD10: D3B14004 1802F104
	v_pk_mul_f32 v[6:7], v[6:7], v[122:123]                    // 00000000BD18: D3B14006 1802F506
	v_pk_mul_f32 v[4:5], v[4:5], s[60:61]                      // 00000000BD20: D3B14004 18007904
	v_pk_mul_f32 v[6:7], v[6:7], s[60:61]                      // 00000000BD28: D3B14006 18007906
	v_exp_f32_e32 v4, v4                                       // 00000000BD30: 7E084104
	v_exp_f32_e32 v5, v5                                       // 00000000BD34: 7E0A4105
	v_exp_f32_e32 v6, v6                                       // 00000000BD38: 7E0C4106
	v_exp_f32_e32 v7, v7                                       // 00000000BD3C: 7E0E4107
	v_add_f32_e64 v4, v4, 1.0                                  // 00000000BD40: D1010004 0001E504
	v_add_f32_e64 v5, v5, 1.0                                  // 00000000BD48: D1010005 0001E505
	v_add_f32_e64 v6, v6, 1.0                                  // 00000000BD50: D1010006 0001E506
	v_add_f32_e64 v7, v7, 1.0                                  // 00000000BD58: D1010007 0001E507
	v_rcp_f32_e32 v4, v4                                       // 00000000BD60: 7E084504
	v_rcp_f32_e32 v5, v5                                       // 00000000BD64: 7E0A4505
	v_rcp_f32_e32 v6, v6                                       // 00000000BD68: 7E0C4506
	v_rcp_f32_e32 v7, v7                                       // 00000000BD6C: 7E0E4507
	v_mul_f32_e32 v120, v120, v4                               // 00000000BD70: 0AF00978
	v_mul_f32_e32 v121, v121, v5                               // 00000000BD74: 0AF20B79
	v_mul_f32_e32 v122, v122, v6                               // 00000000BD78: 0AF40D7A
	v_mul_f32_e32 v123, v123, v7                               // 00000000BD7C: 0AF60F7B
	v_mul_f32_e32 v120, v120, v200                             // 00000000BD80: 0AF19178
	v_mul_f32_e32 v121, v121, v201                             // 00000000BD84: 0AF39379
	v_mul_f32_e32 v122, v122, v202                             // 00000000BD88: 0AF5957A
	v_mul_f32_e32 v123, v123, v203                             // 00000000BD8C: 0AF7977B
	v_pk_mul_f32 v[4:5], v[124:125], v[124:125]                // 00000000BD90: D3B14004 1802F97C
	v_pk_mul_f32 v[6:7], v[126:127], v[126:127]                // 00000000BD98: D3B14006 1802FD7E
	v_pk_fma_f32 v[4:5], v[4:5], s[78:79], v[8:9]              // 00000000BDA0: D3B04004 1C209D04
	v_pk_fma_f32 v[6:7], v[6:7], s[78:79], v[8:9]              // 00000000BDA8: D3B04006 1C209D06
	v_pk_mul_f32 v[4:5], v[4:5], v[124:125]                    // 00000000BDB0: D3B14004 1802F904
	v_pk_mul_f32 v[6:7], v[6:7], v[126:127]                    // 00000000BDB8: D3B14006 1802FD06
	v_pk_mul_f32 v[4:5], v[4:5], s[60:61]                      // 00000000BDC0: D3B14004 18007904
	v_pk_mul_f32 v[6:7], v[6:7], s[60:61]                      // 00000000BDC8: D3B14006 18007906
	v_exp_f32_e32 v4, v4                                       // 00000000BDD0: 7E084104
	v_exp_f32_e32 v5, v5                                       // 00000000BDD4: 7E0A4105
	v_exp_f32_e32 v6, v6                                       // 00000000BDD8: 7E0C4106
	v_exp_f32_e32 v7, v7                                       // 00000000BDDC: 7E0E4107
	v_add_f32_e64 v4, v4, 1.0                                  // 00000000BDE0: D1010004 0001E504
	v_add_f32_e64 v5, v5, 1.0                                  // 00000000BDE8: D1010005 0001E505
	v_add_f32_e64 v6, v6, 1.0                                  // 00000000BDF0: D1010006 0001E506
	v_add_f32_e64 v7, v7, 1.0                                  // 00000000BDF8: D1010007 0001E507
	v_rcp_f32_e32 v4, v4                                       // 00000000BE00: 7E084504
	v_rcp_f32_e32 v5, v5                                       // 00000000BE04: 7E0A4505
	v_rcp_f32_e32 v6, v6                                       // 00000000BE08: 7E0C4506
	v_rcp_f32_e32 v7, v7                                       // 00000000BE0C: 7E0E4507
	v_mul_f32_e32 v124, v124, v4                               // 00000000BE10: 0AF8097C
	v_mul_f32_e32 v125, v125, v5                               // 00000000BE14: 0AFA0B7D
	v_mul_f32_e32 v126, v126, v6                               // 00000000BE18: 0AFC0D7E
	v_mul_f32_e32 v127, v127, v7                               // 00000000BE1C: 0AFE0F7F
	v_mul_f32_e32 v124, v124, v204                             // 00000000BE20: 0AF9997C
	v_mul_f32_e32 v125, v125, v205                             // 00000000BE24: 0AFB9B7D
	v_mul_f32_e32 v126, v126, v206                             // 00000000BE28: 0AFD9D7E
	v_mul_f32_e32 v127, v127, v207                             // 00000000BE2C: 0AFF9F7F
	v_pk_mul_f32 v[4:5], v[128:129], v[128:129]                // 00000000BE30: D3B14004 18030180
	v_pk_mul_f32 v[6:7], v[130:131], v[130:131]                // 00000000BE38: D3B14006 18030582
	v_pk_fma_f32 v[4:5], v[4:5], s[78:79], v[8:9]              // 00000000BE40: D3B04004 1C209D04
	v_pk_fma_f32 v[6:7], v[6:7], s[78:79], v[8:9]              // 00000000BE48: D3B04006 1C209D06
	v_pk_mul_f32 v[4:5], v[4:5], v[128:129]                    // 00000000BE50: D3B14004 18030104
	v_pk_mul_f32 v[6:7], v[6:7], v[130:131]                    // 00000000BE58: D3B14006 18030506
	v_pk_mul_f32 v[4:5], v[4:5], s[60:61]                      // 00000000BE60: D3B14004 18007904
	v_pk_mul_f32 v[6:7], v[6:7], s[60:61]                      // 00000000BE68: D3B14006 18007906
	v_exp_f32_e32 v4, v4                                       // 00000000BE70: 7E084104
	v_exp_f32_e32 v5, v5                                       // 00000000BE74: 7E0A4105
	v_exp_f32_e32 v6, v6                                       // 00000000BE78: 7E0C4106
	v_exp_f32_e32 v7, v7                                       // 00000000BE7C: 7E0E4107
	v_add_f32_e64 v4, v4, 1.0                                  // 00000000BE80: D1010004 0001E504
	v_add_f32_e64 v5, v5, 1.0                                  // 00000000BE88: D1010005 0001E505
	v_add_f32_e64 v6, v6, 1.0                                  // 00000000BE90: D1010006 0001E506
	v_add_f32_e64 v7, v7, 1.0                                  // 00000000BE98: D1010007 0001E507
	v_rcp_f32_e32 v4, v4                                       // 00000000BEA0: 7E084504
	v_rcp_f32_e32 v5, v5                                       // 00000000BEA4: 7E0A4505
	v_rcp_f32_e32 v6, v6                                       // 00000000BEA8: 7E0C4506
	v_rcp_f32_e32 v7, v7                                       // 00000000BEAC: 7E0E4507
	v_mul_f32_e32 v128, v128, v4                               // 00000000BEB0: 0B000980
	v_mul_f32_e32 v129, v129, v5                               // 00000000BEB4: 0B020B81
	v_mul_f32_e32 v130, v130, v6                               // 00000000BEB8: 0B040D82
	v_mul_f32_e32 v131, v131, v7                               // 00000000BEBC: 0B060F83
	v_mul_f32_e32 v128, v128, v208                             // 00000000BEC0: 0B01A180
	v_mul_f32_e32 v129, v129, v209                             // 00000000BEC4: 0B03A381
	v_mul_f32_e32 v130, v130, v210                             // 00000000BEC8: 0B05A582
	v_mul_f32_e32 v131, v131, v211                             // 00000000BECC: 0B07A783
	v_pk_mul_f32 v[4:5], v[132:133], v[132:133]                // 00000000BED0: D3B14004 18030984
	v_pk_mul_f32 v[6:7], v[134:135], v[134:135]                // 00000000BED8: D3B14006 18030D86
	v_pk_fma_f32 v[4:5], v[4:5], s[78:79], v[8:9]              // 00000000BEE0: D3B04004 1C209D04
	v_pk_fma_f32 v[6:7], v[6:7], s[78:79], v[8:9]              // 00000000BEE8: D3B04006 1C209D06
	v_pk_mul_f32 v[4:5], v[4:5], v[132:133]                    // 00000000BEF0: D3B14004 18030904
	v_pk_mul_f32 v[6:7], v[6:7], v[134:135]                    // 00000000BEF8: D3B14006 18030D06
	v_pk_mul_f32 v[4:5], v[4:5], s[60:61]                      // 00000000BF00: D3B14004 18007904
	v_pk_mul_f32 v[6:7], v[6:7], s[60:61]                      // 00000000BF08: D3B14006 18007906
	v_exp_f32_e32 v4, v4                                       // 00000000BF10: 7E084104
	v_exp_f32_e32 v5, v5                                       // 00000000BF14: 7E0A4105
	v_exp_f32_e32 v6, v6                                       // 00000000BF18: 7E0C4106
	v_exp_f32_e32 v7, v7                                       // 00000000BF1C: 7E0E4107
	v_add_f32_e64 v4, v4, 1.0                                  // 00000000BF20: D1010004 0001E504
	v_add_f32_e64 v5, v5, 1.0                                  // 00000000BF28: D1010005 0001E505
	v_add_f32_e64 v6, v6, 1.0                                  // 00000000BF30: D1010006 0001E506
	v_add_f32_e64 v7, v7, 1.0                                  // 00000000BF38: D1010007 0001E507
	v_rcp_f32_e32 v4, v4                                       // 00000000BF40: 7E084504
	v_rcp_f32_e32 v5, v5                                       // 00000000BF44: 7E0A4505
	v_rcp_f32_e32 v6, v6                                       // 00000000BF48: 7E0C4506
	v_rcp_f32_e32 v7, v7                                       // 00000000BF4C: 7E0E4507
	v_mul_f32_e32 v132, v132, v4                               // 00000000BF50: 0B080984
	v_mul_f32_e32 v133, v133, v5                               // 00000000BF54: 0B0A0B85
	v_mul_f32_e32 v134, v134, v6                               // 00000000BF58: 0B0C0D86
	v_mul_f32_e32 v135, v135, v7                               // 00000000BF5C: 0B0E0F87
	v_mul_f32_e32 v132, v132, v212                             // 00000000BF60: 0B09A984
	v_mul_f32_e32 v133, v133, v213                             // 00000000BF64: 0B0BAB85
	v_mul_f32_e32 v134, v134, v214                             // 00000000BF68: 0B0DAD86
	v_mul_f32_e32 v135, v135, v215                             // 00000000BF6C: 0B0FAF87
	v_pk_mul_f32 v[4:5], v[136:137], v[136:137]                // 00000000BF70: D3B14004 18031188
	v_pk_mul_f32 v[6:7], v[138:139], v[138:139]                // 00000000BF78: D3B14006 1803158A
	v_pk_fma_f32 v[4:5], v[4:5], s[78:79], v[8:9]              // 00000000BF80: D3B04004 1C209D04
	v_pk_fma_f32 v[6:7], v[6:7], s[78:79], v[8:9]              // 00000000BF88: D3B04006 1C209D06
	v_pk_mul_f32 v[4:5], v[4:5], v[136:137]                    // 00000000BF90: D3B14004 18031104
	v_pk_mul_f32 v[6:7], v[6:7], v[138:139]                    // 00000000BF98: D3B14006 18031506
	v_pk_mul_f32 v[4:5], v[4:5], s[60:61]                      // 00000000BFA0: D3B14004 18007904
	v_pk_mul_f32 v[6:7], v[6:7], s[60:61]                      // 00000000BFA8: D3B14006 18007906
	v_exp_f32_e32 v4, v4                                       // 00000000BFB0: 7E084104
	v_exp_f32_e32 v5, v5                                       // 00000000BFB4: 7E0A4105
	v_exp_f32_e32 v6, v6                                       // 00000000BFB8: 7E0C4106
	v_exp_f32_e32 v7, v7                                       // 00000000BFBC: 7E0E4107
	v_add_f32_e64 v4, v4, 1.0                                  // 00000000BFC0: D1010004 0001E504
	v_add_f32_e64 v5, v5, 1.0                                  // 00000000BFC8: D1010005 0001E505
	v_add_f32_e64 v6, v6, 1.0                                  // 00000000BFD0: D1010006 0001E506
	v_add_f32_e64 v7, v7, 1.0                                  // 00000000BFD8: D1010007 0001E507
	v_rcp_f32_e32 v4, v4                                       // 00000000BFE0: 7E084504
	v_rcp_f32_e32 v5, v5                                       // 00000000BFE4: 7E0A4505
	v_rcp_f32_e32 v6, v6                                       // 00000000BFE8: 7E0C4506
	v_rcp_f32_e32 v7, v7                                       // 00000000BFEC: 7E0E4507
	v_mul_f32_e32 v136, v136, v4                               // 00000000BFF0: 0B100988
	v_mul_f32_e32 v137, v137, v5                               // 00000000BFF4: 0B120B89
	v_mul_f32_e32 v138, v138, v6                               // 00000000BFF8: 0B140D8A
	v_mul_f32_e32 v139, v139, v7                               // 00000000BFFC: 0B160F8B
	v_mul_f32_e32 v136, v136, v216                             // 00000000C000: 0B11B188
	v_mul_f32_e32 v137, v137, v217                             // 00000000C004: 0B13B389
	v_mul_f32_e32 v138, v138, v218                             // 00000000C008: 0B15B58A
	v_mul_f32_e32 v139, v139, v219                             // 00000000C00C: 0B17B78B
	v_pk_mul_f32 v[4:5], v[140:141], v[140:141]                // 00000000C010: D3B14004 1803198C
	v_pk_mul_f32 v[6:7], v[142:143], v[142:143]                // 00000000C018: D3B14006 18031D8E
	v_pk_fma_f32 v[4:5], v[4:5], s[78:79], v[8:9]              // 00000000C020: D3B04004 1C209D04
	v_pk_fma_f32 v[6:7], v[6:7], s[78:79], v[8:9]              // 00000000C028: D3B04006 1C209D06
	v_pk_mul_f32 v[4:5], v[4:5], v[140:141]                    // 00000000C030: D3B14004 18031904
	v_pk_mul_f32 v[6:7], v[6:7], v[142:143]                    // 00000000C038: D3B14006 18031D06
	v_pk_mul_f32 v[4:5], v[4:5], s[60:61]                      // 00000000C040: D3B14004 18007904
	v_pk_mul_f32 v[6:7], v[6:7], s[60:61]                      // 00000000C048: D3B14006 18007906
	v_exp_f32_e32 v4, v4                                       // 00000000C050: 7E084104
	v_exp_f32_e32 v5, v5                                       // 00000000C054: 7E0A4105
	v_exp_f32_e32 v6, v6                                       // 00000000C058: 7E0C4106
	v_exp_f32_e32 v7, v7                                       // 00000000C05C: 7E0E4107
	v_add_f32_e64 v4, v4, 1.0                                  // 00000000C060: D1010004 0001E504
	v_add_f32_e64 v5, v5, 1.0                                  // 00000000C068: D1010005 0001E505
	v_add_f32_e64 v6, v6, 1.0                                  // 00000000C070: D1010006 0001E506
	v_add_f32_e64 v7, v7, 1.0                                  // 00000000C078: D1010007 0001E507
	v_rcp_f32_e32 v4, v4                                       // 00000000C080: 7E084504
	v_rcp_f32_e32 v5, v5                                       // 00000000C084: 7E0A4505
	v_rcp_f32_e32 v6, v6                                       // 00000000C088: 7E0C4506
	v_rcp_f32_e32 v7, v7                                       // 00000000C08C: 7E0E4507
	v_mul_f32_e32 v140, v140, v4                               // 00000000C090: 0B18098C
	v_mul_f32_e32 v141, v141, v5                               // 00000000C094: 0B1A0B8D
	v_mul_f32_e32 v142, v142, v6                               // 00000000C098: 0B1C0D8E
	v_mul_f32_e32 v143, v143, v7                               // 00000000C09C: 0B1E0F8F
	v_mul_f32_e32 v140, v140, v220                             // 00000000C0A0: 0B19B98C
	v_mul_f32_e32 v141, v141, v221                             // 00000000C0A4: 0B1BBB8D
	v_mul_f32_e32 v142, v142, v222                             // 00000000C0A8: 0B1DBD8E
	v_mul_f32_e32 v143, v143, v223                             // 00000000C0AC: 0B1FBF8F
	s_branch label_2830                                        // 00000000C0B0: BF820280

000000000000c0b4 <label_25B0>:
	v_mul_f32_e64 v4, -v64, s6                                 // 00000000C0B4: D1050004 20000D40
	v_mul_f32_e64 v5, -v65, s6                                 // 00000000C0BC: D1050005 20000D41
	v_mul_f32_e64 v6, -v66, s6                                 // 00000000C0C4: D1050006 20000D42
	v_mul_f32_e64 v7, -v67, s6                                 // 00000000C0CC: D1050007 20000D43
	v_exp_f32_e32 v4, v4                                       // 00000000C0D4: 7E084104
	v_exp_f32_e32 v5, v5                                       // 00000000C0D8: 7E0A4105
	v_exp_f32_e32 v6, v6                                       // 00000000C0DC: 7E0C4106
	v_exp_f32_e32 v7, v7                                       // 00000000C0E0: 7E0E4107
	v_add_f32_e64 v4, v4, 1.0                                  // 00000000C0E4: D1010004 0001E504
	v_add_f32_e64 v5, v5, 1.0                                  // 00000000C0EC: D1010005 0001E505
	v_add_f32_e64 v6, v6, 1.0                                  // 00000000C0F4: D1010006 0001E506
	v_add_f32_e64 v7, v7, 1.0                                  // 00000000C0FC: D1010007 0001E507
	v_rcp_f32_e32 v4, v4                                       // 00000000C104: 7E084504
	v_rcp_f32_e32 v5, v5                                       // 00000000C108: 7E0A4505
	v_rcp_f32_e32 v6, v6                                       // 00000000C10C: 7E0C4506
	v_rcp_f32_e32 v7, v7                                       // 00000000C110: 7E0E4507
	v_mul_f32_e32 v64, v64, v4                                 // 00000000C114: 0A800940
	v_mul_f32_e32 v65, v65, v5                                 // 00000000C118: 0A820B41
	v_mul_f32_e32 v66, v66, v6                                 // 00000000C11C: 0A840D42
	v_mul_f32_e32 v67, v67, v7                                 // 00000000C120: 0A860F43
	v_mul_f32_e32 v64, v64, v144                               // 00000000C124: 0A812140
	v_mul_f32_e32 v65, v65, v145                               // 00000000C128: 0A832341
	v_mul_f32_e32 v66, v66, v146                               // 00000000C12C: 0A852542
	v_mul_f32_e32 v67, v67, v147                               // 00000000C130: 0A872743
	v_mul_f32_e64 v4, -v68, s6                                 // 00000000C134: D1050004 20000D44
	v_mul_f32_e64 v5, -v69, s6                                 // 00000000C13C: D1050005 20000D45
	v_mul_f32_e64 v6, -v70, s6                                 // 00000000C144: D1050006 20000D46
	v_mul_f32_e64 v7, -v71, s6                                 // 00000000C14C: D1050007 20000D47
	v_exp_f32_e32 v4, v4                                       // 00000000C154: 7E084104
	v_exp_f32_e32 v5, v5                                       // 00000000C158: 7E0A4105
	v_exp_f32_e32 v6, v6                                       // 00000000C15C: 7E0C4106
	v_exp_f32_e32 v7, v7                                       // 00000000C160: 7E0E4107
	v_add_f32_e64 v4, v4, 1.0                                  // 00000000C164: D1010004 0001E504
	v_add_f32_e64 v5, v5, 1.0                                  // 00000000C16C: D1010005 0001E505
	v_add_f32_e64 v6, v6, 1.0                                  // 00000000C174: D1010006 0001E506
	v_add_f32_e64 v7, v7, 1.0                                  // 00000000C17C: D1010007 0001E507
	v_rcp_f32_e32 v4, v4                                       // 00000000C184: 7E084504
	v_rcp_f32_e32 v5, v5                                       // 00000000C188: 7E0A4505
	v_rcp_f32_e32 v6, v6                                       // 00000000C18C: 7E0C4506
	v_rcp_f32_e32 v7, v7                                       // 00000000C190: 7E0E4507
	v_mul_f32_e32 v68, v68, v4                                 // 00000000C194: 0A880944
	v_mul_f32_e32 v69, v69, v5                                 // 00000000C198: 0A8A0B45
	v_mul_f32_e32 v70, v70, v6                                 // 00000000C19C: 0A8C0D46
	v_mul_f32_e32 v71, v71, v7                                 // 00000000C1A0: 0A8E0F47
	v_mul_f32_e32 v68, v68, v148                               // 00000000C1A4: 0A892944
	v_mul_f32_e32 v69, v69, v149                               // 00000000C1A8: 0A8B2B45
	v_mul_f32_e32 v70, v70, v150                               // 00000000C1AC: 0A8D2D46
	v_mul_f32_e32 v71, v71, v151                               // 00000000C1B0: 0A8F2F47
	v_mul_f32_e64 v4, -v72, s6                                 // 00000000C1B4: D1050004 20000D48
	v_mul_f32_e64 v5, -v73, s6                                 // 00000000C1BC: D1050005 20000D49
	v_mul_f32_e64 v6, -v74, s6                                 // 00000000C1C4: D1050006 20000D4A
	v_mul_f32_e64 v7, -v75, s6                                 // 00000000C1CC: D1050007 20000D4B
	v_exp_f32_e32 v4, v4                                       // 00000000C1D4: 7E084104
	v_exp_f32_e32 v5, v5                                       // 00000000C1D8: 7E0A4105
	v_exp_f32_e32 v6, v6                                       // 00000000C1DC: 7E0C4106
	v_exp_f32_e32 v7, v7                                       // 00000000C1E0: 7E0E4107
	v_add_f32_e64 v4, v4, 1.0                                  // 00000000C1E4: D1010004 0001E504
	v_add_f32_e64 v5, v5, 1.0                                  // 00000000C1EC: D1010005 0001E505
	v_add_f32_e64 v6, v6, 1.0                                  // 00000000C1F4: D1010006 0001E506
	v_add_f32_e64 v7, v7, 1.0                                  // 00000000C1FC: D1010007 0001E507
	v_rcp_f32_e32 v4, v4                                       // 00000000C204: 7E084504
	v_rcp_f32_e32 v5, v5                                       // 00000000C208: 7E0A4505
	v_rcp_f32_e32 v6, v6                                       // 00000000C20C: 7E0C4506
	v_rcp_f32_e32 v7, v7                                       // 00000000C210: 7E0E4507
	v_mul_f32_e32 v72, v72, v4                                 // 00000000C214: 0A900948
	v_mul_f32_e32 v73, v73, v5                                 // 00000000C218: 0A920B49
	v_mul_f32_e32 v74, v74, v6                                 // 00000000C21C: 0A940D4A
	v_mul_f32_e32 v75, v75, v7                                 // 00000000C220: 0A960F4B
	v_mul_f32_e32 v72, v72, v152                               // 00000000C224: 0A913148
	v_mul_f32_e32 v73, v73, v153                               // 00000000C228: 0A933349
	v_mul_f32_e32 v74, v74, v154                               // 00000000C22C: 0A95354A
	v_mul_f32_e32 v75, v75, v155                               // 00000000C230: 0A97374B
	v_mul_f32_e64 v4, -v76, s6                                 // 00000000C234: D1050004 20000D4C
	v_mul_f32_e64 v5, -v77, s6                                 // 00000000C23C: D1050005 20000D4D
	v_mul_f32_e64 v6, -v78, s6                                 // 00000000C244: D1050006 20000D4E
	v_mul_f32_e64 v7, -v79, s6                                 // 00000000C24C: D1050007 20000D4F
	v_exp_f32_e32 v4, v4                                       // 00000000C254: 7E084104
	v_exp_f32_e32 v5, v5                                       // 00000000C258: 7E0A4105
	v_exp_f32_e32 v6, v6                                       // 00000000C25C: 7E0C4106
	v_exp_f32_e32 v7, v7                                       // 00000000C260: 7E0E4107
	v_add_f32_e64 v4, v4, 1.0                                  // 00000000C264: D1010004 0001E504
	v_add_f32_e64 v5, v5, 1.0                                  // 00000000C26C: D1010005 0001E505
	v_add_f32_e64 v6, v6, 1.0                                  // 00000000C274: D1010006 0001E506
	v_add_f32_e64 v7, v7, 1.0                                  // 00000000C27C: D1010007 0001E507
	v_rcp_f32_e32 v4, v4                                       // 00000000C284: 7E084504
	v_rcp_f32_e32 v5, v5                                       // 00000000C288: 7E0A4505
	v_rcp_f32_e32 v6, v6                                       // 00000000C28C: 7E0C4506
	v_rcp_f32_e32 v7, v7                                       // 00000000C290: 7E0E4507
	v_mul_f32_e32 v76, v76, v4                                 // 00000000C294: 0A98094C
	v_mul_f32_e32 v77, v77, v5                                 // 00000000C298: 0A9A0B4D
	v_mul_f32_e32 v78, v78, v6                                 // 00000000C29C: 0A9C0D4E
	v_mul_f32_e32 v79, v79, v7                                 // 00000000C2A0: 0A9E0F4F
	v_mul_f32_e32 v76, v76, v156                               // 00000000C2A4: 0A99394C
	v_mul_f32_e32 v77, v77, v157                               // 00000000C2A8: 0A9B3B4D
	v_mul_f32_e32 v78, v78, v158                               // 00000000C2AC: 0A9D3D4E
	v_mul_f32_e32 v79, v79, v159                               // 00000000C2B0: 0A9F3F4F
	v_mul_f32_e64 v4, -v80, s6                                 // 00000000C2B4: D1050004 20000D50
	v_mul_f32_e64 v5, -v81, s6                                 // 00000000C2BC: D1050005 20000D51
	v_mul_f32_e64 v6, -v82, s6                                 // 00000000C2C4: D1050006 20000D52
	v_mul_f32_e64 v7, -v83, s6                                 // 00000000C2CC: D1050007 20000D53
	v_exp_f32_e32 v4, v4                                       // 00000000C2D4: 7E084104
	v_exp_f32_e32 v5, v5                                       // 00000000C2D8: 7E0A4105
	v_exp_f32_e32 v6, v6                                       // 00000000C2DC: 7E0C4106
	v_exp_f32_e32 v7, v7                                       // 00000000C2E0: 7E0E4107
	v_add_f32_e64 v4, v4, 1.0                                  // 00000000C2E4: D1010004 0001E504
	v_add_f32_e64 v5, v5, 1.0                                  // 00000000C2EC: D1010005 0001E505
	v_add_f32_e64 v6, v6, 1.0                                  // 00000000C2F4: D1010006 0001E506
	v_add_f32_e64 v7, v7, 1.0                                  // 00000000C2FC: D1010007 0001E507
	v_rcp_f32_e32 v4, v4                                       // 00000000C304: 7E084504
	v_rcp_f32_e32 v5, v5                                       // 00000000C308: 7E0A4505
	v_rcp_f32_e32 v6, v6                                       // 00000000C30C: 7E0C4506
	v_rcp_f32_e32 v7, v7                                       // 00000000C310: 7E0E4507
	v_mul_f32_e32 v80, v80, v4                                 // 00000000C314: 0AA00950
	v_mul_f32_e32 v81, v81, v5                                 // 00000000C318: 0AA20B51
	v_mul_f32_e32 v82, v82, v6                                 // 00000000C31C: 0AA40D52
	v_mul_f32_e32 v83, v83, v7                                 // 00000000C320: 0AA60F53
	v_mul_f32_e32 v80, v80, v160                               // 00000000C324: 0AA14150
	v_mul_f32_e32 v81, v81, v161                               // 00000000C328: 0AA34351
	v_mul_f32_e32 v82, v82, v162                               // 00000000C32C: 0AA54552
	v_mul_f32_e32 v83, v83, v163                               // 00000000C330: 0AA74753
	v_mul_f32_e64 v4, -v84, s6                                 // 00000000C334: D1050004 20000D54
	v_mul_f32_e64 v5, -v85, s6                                 // 00000000C33C: D1050005 20000D55
	v_mul_f32_e64 v6, -v86, s6                                 // 00000000C344: D1050006 20000D56
	v_mul_f32_e64 v7, -v87, s6                                 // 00000000C34C: D1050007 20000D57
	v_exp_f32_e32 v4, v4                                       // 00000000C354: 7E084104
	v_exp_f32_e32 v5, v5                                       // 00000000C358: 7E0A4105
	v_exp_f32_e32 v6, v6                                       // 00000000C35C: 7E0C4106
	v_exp_f32_e32 v7, v7                                       // 00000000C360: 7E0E4107
	v_add_f32_e64 v4, v4, 1.0                                  // 00000000C364: D1010004 0001E504
	v_add_f32_e64 v5, v5, 1.0                                  // 00000000C36C: D1010005 0001E505
	v_add_f32_e64 v6, v6, 1.0                                  // 00000000C374: D1010006 0001E506
	v_add_f32_e64 v7, v7, 1.0                                  // 00000000C37C: D1010007 0001E507
	v_rcp_f32_e32 v4, v4                                       // 00000000C384: 7E084504
	v_rcp_f32_e32 v5, v5                                       // 00000000C388: 7E0A4505
	v_rcp_f32_e32 v6, v6                                       // 00000000C38C: 7E0C4506
	v_rcp_f32_e32 v7, v7                                       // 00000000C390: 7E0E4507
	v_mul_f32_e32 v84, v84, v4                                 // 00000000C394: 0AA80954
	v_mul_f32_e32 v85, v85, v5                                 // 00000000C398: 0AAA0B55
	v_mul_f32_e32 v86, v86, v6                                 // 00000000C39C: 0AAC0D56
	v_mul_f32_e32 v87, v87, v7                                 // 00000000C3A0: 0AAE0F57
	v_mul_f32_e32 v84, v84, v164                               // 00000000C3A4: 0AA94954
	v_mul_f32_e32 v85, v85, v165                               // 00000000C3A8: 0AAB4B55
	v_mul_f32_e32 v86, v86, v166                               // 00000000C3AC: 0AAD4D56
	v_mul_f32_e32 v87, v87, v167                               // 00000000C3B0: 0AAF4F57
	v_mul_f32_e64 v4, -v88, s6                                 // 00000000C3B4: D1050004 20000D58
	v_mul_f32_e64 v5, -v89, s6                                 // 00000000C3BC: D1050005 20000D59
	v_mul_f32_e64 v6, -v90, s6                                 // 00000000C3C4: D1050006 20000D5A
	v_mul_f32_e64 v7, -v91, s6                                 // 00000000C3CC: D1050007 20000D5B
	v_exp_f32_e32 v4, v4                                       // 00000000C3D4: 7E084104
	v_exp_f32_e32 v5, v5                                       // 00000000C3D8: 7E0A4105
	v_exp_f32_e32 v6, v6                                       // 00000000C3DC: 7E0C4106
	v_exp_f32_e32 v7, v7                                       // 00000000C3E0: 7E0E4107
	v_add_f32_e64 v4, v4, 1.0                                  // 00000000C3E4: D1010004 0001E504
	v_add_f32_e64 v5, v5, 1.0                                  // 00000000C3EC: D1010005 0001E505
	v_add_f32_e64 v6, v6, 1.0                                  // 00000000C3F4: D1010006 0001E506
	v_add_f32_e64 v7, v7, 1.0                                  // 00000000C3FC: D1010007 0001E507
	v_rcp_f32_e32 v4, v4                                       // 00000000C404: 7E084504
	v_rcp_f32_e32 v5, v5                                       // 00000000C408: 7E0A4505
	v_rcp_f32_e32 v6, v6                                       // 00000000C40C: 7E0C4506
	v_rcp_f32_e32 v7, v7                                       // 00000000C410: 7E0E4507
	v_mul_f32_e32 v88, v88, v4                                 // 00000000C414: 0AB00958
	v_mul_f32_e32 v89, v89, v5                                 // 00000000C418: 0AB20B59
	v_mul_f32_e32 v90, v90, v6                                 // 00000000C41C: 0AB40D5A
	v_mul_f32_e32 v91, v91, v7                                 // 00000000C420: 0AB60F5B
	v_mul_f32_e32 v88, v88, v168                               // 00000000C424: 0AB15158
	v_mul_f32_e32 v89, v89, v169                               // 00000000C428: 0AB35359
	v_mul_f32_e32 v90, v90, v170                               // 00000000C42C: 0AB5555A
	v_mul_f32_e32 v91, v91, v171                               // 00000000C430: 0AB7575B
	v_mul_f32_e64 v4, -v92, s6                                 // 00000000C434: D1050004 20000D5C
	v_mul_f32_e64 v5, -v93, s6                                 // 00000000C43C: D1050005 20000D5D
	v_mul_f32_e64 v6, -v94, s6                                 // 00000000C444: D1050006 20000D5E
	v_mul_f32_e64 v7, -v95, s6                                 // 00000000C44C: D1050007 20000D5F
	v_exp_f32_e32 v4, v4                                       // 00000000C454: 7E084104
	v_exp_f32_e32 v5, v5                                       // 00000000C458: 7E0A4105
	v_exp_f32_e32 v6, v6                                       // 00000000C45C: 7E0C4106
	v_exp_f32_e32 v7, v7                                       // 00000000C460: 7E0E4107
	v_add_f32_e64 v4, v4, 1.0                                  // 00000000C464: D1010004 0001E504
	v_add_f32_e64 v5, v5, 1.0                                  // 00000000C46C: D1010005 0001E505
	v_add_f32_e64 v6, v6, 1.0                                  // 00000000C474: D1010006 0001E506
	v_add_f32_e64 v7, v7, 1.0                                  // 00000000C47C: D1010007 0001E507
	v_rcp_f32_e32 v4, v4                                       // 00000000C484: 7E084504
	v_rcp_f32_e32 v5, v5                                       // 00000000C488: 7E0A4505
	v_rcp_f32_e32 v6, v6                                       // 00000000C48C: 7E0C4506
	v_rcp_f32_e32 v7, v7                                       // 00000000C490: 7E0E4507
	v_mul_f32_e32 v92, v92, v4                                 // 00000000C494: 0AB8095C
	v_mul_f32_e32 v93, v93, v5                                 // 00000000C498: 0ABA0B5D
	v_mul_f32_e32 v94, v94, v6                                 // 00000000C49C: 0ABC0D5E
	v_mul_f32_e32 v95, v95, v7                                 // 00000000C4A0: 0ABE0F5F
	v_mul_f32_e32 v92, v92, v172                               // 00000000C4A4: 0AB9595C
	v_mul_f32_e32 v93, v93, v173                               // 00000000C4A8: 0ABB5B5D
	v_mul_f32_e32 v94, v94, v174                               // 00000000C4AC: 0ABD5D5E
	v_mul_f32_e32 v95, v95, v175                               // 00000000C4B0: 0ABF5F5F
	v_mul_f32_e64 v4, -v96, s6                                 // 00000000C4B4: D1050004 20000D60
	v_mul_f32_e64 v5, -v97, s6                                 // 00000000C4BC: D1050005 20000D61
	v_mul_f32_e64 v6, -v98, s6                                 // 00000000C4C4: D1050006 20000D62
	v_mul_f32_e64 v7, -v99, s6                                 // 00000000C4CC: D1050007 20000D63
	v_exp_f32_e32 v4, v4                                       // 00000000C4D4: 7E084104
	v_exp_f32_e32 v5, v5                                       // 00000000C4D8: 7E0A4105
	v_exp_f32_e32 v6, v6                                       // 00000000C4DC: 7E0C4106
	v_exp_f32_e32 v7, v7                                       // 00000000C4E0: 7E0E4107
	v_add_f32_e64 v4, v4, 1.0                                  // 00000000C4E4: D1010004 0001E504
	v_add_f32_e64 v5, v5, 1.0                                  // 00000000C4EC: D1010005 0001E505
	v_add_f32_e64 v6, v6, 1.0                                  // 00000000C4F4: D1010006 0001E506
	v_add_f32_e64 v7, v7, 1.0                                  // 00000000C4FC: D1010007 0001E507
	v_rcp_f32_e32 v4, v4                                       // 00000000C504: 7E084504
	v_rcp_f32_e32 v5, v5                                       // 00000000C508: 7E0A4505
	v_rcp_f32_e32 v6, v6                                       // 00000000C50C: 7E0C4506
	v_rcp_f32_e32 v7, v7                                       // 00000000C510: 7E0E4507
	v_mul_f32_e32 v96, v96, v4                                 // 00000000C514: 0AC00960
	v_mul_f32_e32 v97, v97, v5                                 // 00000000C518: 0AC20B61
	v_mul_f32_e32 v98, v98, v6                                 // 00000000C51C: 0AC40D62
	v_mul_f32_e32 v99, v99, v7                                 // 00000000C520: 0AC60F63
	v_mul_f32_e32 v96, v96, v176                               // 00000000C524: 0AC16160
	v_mul_f32_e32 v97, v97, v177                               // 00000000C528: 0AC36361
	v_mul_f32_e32 v98, v98, v178                               // 00000000C52C: 0AC56562
	v_mul_f32_e32 v99, v99, v179                               // 00000000C530: 0AC76763
	v_mul_f32_e64 v4, -v100, s6                                // 00000000C534: D1050004 20000D64
	v_mul_f32_e64 v5, -v101, s6                                // 00000000C53C: D1050005 20000D65
	v_mul_f32_e64 v6, -v102, s6                                // 00000000C544: D1050006 20000D66
	v_mul_f32_e64 v7, -v103, s6                                // 00000000C54C: D1050007 20000D67
	v_exp_f32_e32 v4, v4                                       // 00000000C554: 7E084104
	v_exp_f32_e32 v5, v5                                       // 00000000C558: 7E0A4105
	v_exp_f32_e32 v6, v6                                       // 00000000C55C: 7E0C4106
	v_exp_f32_e32 v7, v7                                       // 00000000C560: 7E0E4107
	v_add_f32_e64 v4, v4, 1.0                                  // 00000000C564: D1010004 0001E504
	v_add_f32_e64 v5, v5, 1.0                                  // 00000000C56C: D1010005 0001E505
	v_add_f32_e64 v6, v6, 1.0                                  // 00000000C574: D1010006 0001E506
	v_add_f32_e64 v7, v7, 1.0                                  // 00000000C57C: D1010007 0001E507
	v_rcp_f32_e32 v4, v4                                       // 00000000C584: 7E084504
	v_rcp_f32_e32 v5, v5                                       // 00000000C588: 7E0A4505
	v_rcp_f32_e32 v6, v6                                       // 00000000C58C: 7E0C4506
	v_rcp_f32_e32 v7, v7                                       // 00000000C590: 7E0E4507
	v_mul_f32_e32 v100, v100, v4                               // 00000000C594: 0AC80964
	v_mul_f32_e32 v101, v101, v5                               // 00000000C598: 0ACA0B65
	v_mul_f32_e32 v102, v102, v6                               // 00000000C59C: 0ACC0D66
	v_mul_f32_e32 v103, v103, v7                               // 00000000C5A0: 0ACE0F67
	v_mul_f32_e32 v100, v100, v180                             // 00000000C5A4: 0AC96964
	v_mul_f32_e32 v101, v101, v181                             // 00000000C5A8: 0ACB6B65
	v_mul_f32_e32 v102, v102, v182                             // 00000000C5AC: 0ACD6D66
	v_mul_f32_e32 v103, v103, v183                             // 00000000C5B0: 0ACF6F67
	v_mul_f32_e64 v4, -v104, s6                                // 00000000C5B4: D1050004 20000D68
	v_mul_f32_e64 v5, -v105, s6                                // 00000000C5BC: D1050005 20000D69
	v_mul_f32_e64 v6, -v106, s6                                // 00000000C5C4: D1050006 20000D6A
	v_mul_f32_e64 v7, -v107, s6                                // 00000000C5CC: D1050007 20000D6B
	v_exp_f32_e32 v4, v4                                       // 00000000C5D4: 7E084104
	v_exp_f32_e32 v5, v5                                       // 00000000C5D8: 7E0A4105
	v_exp_f32_e32 v6, v6                                       // 00000000C5DC: 7E0C4106
	v_exp_f32_e32 v7, v7                                       // 00000000C5E0: 7E0E4107
	v_add_f32_e64 v4, v4, 1.0                                  // 00000000C5E4: D1010004 0001E504
	v_add_f32_e64 v5, v5, 1.0                                  // 00000000C5EC: D1010005 0001E505
	v_add_f32_e64 v6, v6, 1.0                                  // 00000000C5F4: D1010006 0001E506
	v_add_f32_e64 v7, v7, 1.0                                  // 00000000C5FC: D1010007 0001E507
	v_rcp_f32_e32 v4, v4                                       // 00000000C604: 7E084504
	v_rcp_f32_e32 v5, v5                                       // 00000000C608: 7E0A4505
	v_rcp_f32_e32 v6, v6                                       // 00000000C60C: 7E0C4506
	v_rcp_f32_e32 v7, v7                                       // 00000000C610: 7E0E4507
	v_mul_f32_e32 v104, v104, v4                               // 00000000C614: 0AD00968
	v_mul_f32_e32 v105, v105, v5                               // 00000000C618: 0AD20B69
	v_mul_f32_e32 v106, v106, v6                               // 00000000C61C: 0AD40D6A
	v_mul_f32_e32 v107, v107, v7                               // 00000000C620: 0AD60F6B
	v_mul_f32_e32 v104, v104, v184                             // 00000000C624: 0AD17168
	v_mul_f32_e32 v105, v105, v185                             // 00000000C628: 0AD37369
	v_mul_f32_e32 v106, v106, v186                             // 00000000C62C: 0AD5756A
	v_mul_f32_e32 v107, v107, v187                             // 00000000C630: 0AD7776B
	v_mul_f32_e64 v4, -v108, s6                                // 00000000C634: D1050004 20000D6C
	v_mul_f32_e64 v5, -v109, s6                                // 00000000C63C: D1050005 20000D6D
	v_mul_f32_e64 v6, -v110, s6                                // 00000000C644: D1050006 20000D6E
	v_mul_f32_e64 v7, -v111, s6                                // 00000000C64C: D1050007 20000D6F
	v_exp_f32_e32 v4, v4                                       // 00000000C654: 7E084104
	v_exp_f32_e32 v5, v5                                       // 00000000C658: 7E0A4105
	v_exp_f32_e32 v6, v6                                       // 00000000C65C: 7E0C4106
	v_exp_f32_e32 v7, v7                                       // 00000000C660: 7E0E4107
	v_add_f32_e64 v4, v4, 1.0                                  // 00000000C664: D1010004 0001E504
	v_add_f32_e64 v5, v5, 1.0                                  // 00000000C66C: D1010005 0001E505
	v_add_f32_e64 v6, v6, 1.0                                  // 00000000C674: D1010006 0001E506
	v_add_f32_e64 v7, v7, 1.0                                  // 00000000C67C: D1010007 0001E507
	v_rcp_f32_e32 v4, v4                                       // 00000000C684: 7E084504
	v_rcp_f32_e32 v5, v5                                       // 00000000C688: 7E0A4505
	v_rcp_f32_e32 v6, v6                                       // 00000000C68C: 7E0C4506
	v_rcp_f32_e32 v7, v7                                       // 00000000C690: 7E0E4507
	v_mul_f32_e32 v108, v108, v4                               // 00000000C694: 0AD8096C
	v_mul_f32_e32 v109, v109, v5                               // 00000000C698: 0ADA0B6D
	v_mul_f32_e32 v110, v110, v6                               // 00000000C69C: 0ADC0D6E
	v_mul_f32_e32 v111, v111, v7                               // 00000000C6A0: 0ADE0F6F
	v_mul_f32_e32 v108, v108, v188                             // 00000000C6A4: 0AD9796C
	v_mul_f32_e32 v109, v109, v189                             // 00000000C6A8: 0ADB7B6D
	v_mul_f32_e32 v110, v110, v190                             // 00000000C6AC: 0ADD7D6E
	v_mul_f32_e32 v111, v111, v191                             // 00000000C6B0: 0ADF7F6F
	v_mul_f32_e64 v4, -v112, s6                                // 00000000C6B4: D1050004 20000D70
	v_mul_f32_e64 v5, -v113, s6                                // 00000000C6BC: D1050005 20000D71
	v_mul_f32_e64 v6, -v114, s6                                // 00000000C6C4: D1050006 20000D72
	v_mul_f32_e64 v7, -v115, s6                                // 00000000C6CC: D1050007 20000D73
	v_exp_f32_e32 v4, v4                                       // 00000000C6D4: 7E084104
	v_exp_f32_e32 v5, v5                                       // 00000000C6D8: 7E0A4105
	v_exp_f32_e32 v6, v6                                       // 00000000C6DC: 7E0C4106
	v_exp_f32_e32 v7, v7                                       // 00000000C6E0: 7E0E4107
	v_add_f32_e64 v4, v4, 1.0                                  // 00000000C6E4: D1010004 0001E504
	v_add_f32_e64 v5, v5, 1.0                                  // 00000000C6EC: D1010005 0001E505
	v_add_f32_e64 v6, v6, 1.0                                  // 00000000C6F4: D1010006 0001E506
	v_add_f32_e64 v7, v7, 1.0                                  // 00000000C6FC: D1010007 0001E507
	v_rcp_f32_e32 v4, v4                                       // 00000000C704: 7E084504
	v_rcp_f32_e32 v5, v5                                       // 00000000C708: 7E0A4505
	v_rcp_f32_e32 v6, v6                                       // 00000000C70C: 7E0C4506
	v_rcp_f32_e32 v7, v7                                       // 00000000C710: 7E0E4507
	v_mul_f32_e32 v112, v112, v4                               // 00000000C714: 0AE00970
	v_mul_f32_e32 v113, v113, v5                               // 00000000C718: 0AE20B71
	v_mul_f32_e32 v114, v114, v6                               // 00000000C71C: 0AE40D72
	v_mul_f32_e32 v115, v115, v7                               // 00000000C720: 0AE60F73
	v_mul_f32_e32 v112, v112, v192                             // 00000000C724: 0AE18170
	v_mul_f32_e32 v113, v113, v193                             // 00000000C728: 0AE38371
	v_mul_f32_e32 v114, v114, v194                             // 00000000C72C: 0AE58572
	v_mul_f32_e32 v115, v115, v195                             // 00000000C730: 0AE78773
	v_mul_f32_e64 v4, -v116, s6                                // 00000000C734: D1050004 20000D74
	v_mul_f32_e64 v5, -v117, s6                                // 00000000C73C: D1050005 20000D75
	v_mul_f32_e64 v6, -v118, s6                                // 00000000C744: D1050006 20000D76
	v_mul_f32_e64 v7, -v119, s6                                // 00000000C74C: D1050007 20000D77
	v_exp_f32_e32 v4, v4                                       // 00000000C754: 7E084104
	v_exp_f32_e32 v5, v5                                       // 00000000C758: 7E0A4105
	v_exp_f32_e32 v6, v6                                       // 00000000C75C: 7E0C4106
	v_exp_f32_e32 v7, v7                                       // 00000000C760: 7E0E4107
	v_add_f32_e64 v4, v4, 1.0                                  // 00000000C764: D1010004 0001E504
	v_add_f32_e64 v5, v5, 1.0                                  // 00000000C76C: D1010005 0001E505
	v_add_f32_e64 v6, v6, 1.0                                  // 00000000C774: D1010006 0001E506
	v_add_f32_e64 v7, v7, 1.0                                  // 00000000C77C: D1010007 0001E507
	v_rcp_f32_e32 v4, v4                                       // 00000000C784: 7E084504
	v_rcp_f32_e32 v5, v5                                       // 00000000C788: 7E0A4505
	v_rcp_f32_e32 v6, v6                                       // 00000000C78C: 7E0C4506
	v_rcp_f32_e32 v7, v7                                       // 00000000C790: 7E0E4507
	v_mul_f32_e32 v116, v116, v4                               // 00000000C794: 0AE80974
	v_mul_f32_e32 v117, v117, v5                               // 00000000C798: 0AEA0B75
	v_mul_f32_e32 v118, v118, v6                               // 00000000C79C: 0AEC0D76
	v_mul_f32_e32 v119, v119, v7                               // 00000000C7A0: 0AEE0F77
	v_mul_f32_e32 v116, v116, v196                             // 00000000C7A4: 0AE98974
	v_mul_f32_e32 v117, v117, v197                             // 00000000C7A8: 0AEB8B75
	v_mul_f32_e32 v118, v118, v198                             // 00000000C7AC: 0AED8D76
	v_mul_f32_e32 v119, v119, v199                             // 00000000C7B0: 0AEF8F77
	v_mul_f32_e64 v4, -v120, s6                                // 00000000C7B4: D1050004 20000D78
	v_mul_f32_e64 v5, -v121, s6                                // 00000000C7BC: D1050005 20000D79
	v_mul_f32_e64 v6, -v122, s6                                // 00000000C7C4: D1050006 20000D7A
	v_mul_f32_e64 v7, -v123, s6                                // 00000000C7CC: D1050007 20000D7B
	v_exp_f32_e32 v4, v4                                       // 00000000C7D4: 7E084104
	v_exp_f32_e32 v5, v5                                       // 00000000C7D8: 7E0A4105
	v_exp_f32_e32 v6, v6                                       // 00000000C7DC: 7E0C4106
	v_exp_f32_e32 v7, v7                                       // 00000000C7E0: 7E0E4107
	v_add_f32_e64 v4, v4, 1.0                                  // 00000000C7E4: D1010004 0001E504
	v_add_f32_e64 v5, v5, 1.0                                  // 00000000C7EC: D1010005 0001E505
	v_add_f32_e64 v6, v6, 1.0                                  // 00000000C7F4: D1010006 0001E506
	v_add_f32_e64 v7, v7, 1.0                                  // 00000000C7FC: D1010007 0001E507
	v_rcp_f32_e32 v4, v4                                       // 00000000C804: 7E084504
	v_rcp_f32_e32 v5, v5                                       // 00000000C808: 7E0A4505
	v_rcp_f32_e32 v6, v6                                       // 00000000C80C: 7E0C4506
	v_rcp_f32_e32 v7, v7                                       // 00000000C810: 7E0E4507
	v_mul_f32_e32 v120, v120, v4                               // 00000000C814: 0AF00978
	v_mul_f32_e32 v121, v121, v5                               // 00000000C818: 0AF20B79
	v_mul_f32_e32 v122, v122, v6                               // 00000000C81C: 0AF40D7A
	v_mul_f32_e32 v123, v123, v7                               // 00000000C820: 0AF60F7B
	v_mul_f32_e32 v120, v120, v200                             // 00000000C824: 0AF19178
	v_mul_f32_e32 v121, v121, v201                             // 00000000C828: 0AF39379
	v_mul_f32_e32 v122, v122, v202                             // 00000000C82C: 0AF5957A
	v_mul_f32_e32 v123, v123, v203                             // 00000000C830: 0AF7977B
	v_mul_f32_e64 v4, -v124, s6                                // 00000000C834: D1050004 20000D7C
	v_mul_f32_e64 v5, -v125, s6                                // 00000000C83C: D1050005 20000D7D
	v_mul_f32_e64 v6, -v126, s6                                // 00000000C844: D1050006 20000D7E
	v_mul_f32_e64 v7, -v127, s6                                // 00000000C84C: D1050007 20000D7F
	v_exp_f32_e32 v4, v4                                       // 00000000C854: 7E084104
	v_exp_f32_e32 v5, v5                                       // 00000000C858: 7E0A4105
	v_exp_f32_e32 v6, v6                                       // 00000000C85C: 7E0C4106
	v_exp_f32_e32 v7, v7                                       // 00000000C860: 7E0E4107
	v_add_f32_e64 v4, v4, 1.0                                  // 00000000C864: D1010004 0001E504
	v_add_f32_e64 v5, v5, 1.0                                  // 00000000C86C: D1010005 0001E505
	v_add_f32_e64 v6, v6, 1.0                                  // 00000000C874: D1010006 0001E506
	v_add_f32_e64 v7, v7, 1.0                                  // 00000000C87C: D1010007 0001E507
	v_rcp_f32_e32 v4, v4                                       // 00000000C884: 7E084504
	v_rcp_f32_e32 v5, v5                                       // 00000000C888: 7E0A4505
	v_rcp_f32_e32 v6, v6                                       // 00000000C88C: 7E0C4506
	v_rcp_f32_e32 v7, v7                                       // 00000000C890: 7E0E4507
	v_mul_f32_e32 v124, v124, v4                               // 00000000C894: 0AF8097C
	v_mul_f32_e32 v125, v125, v5                               // 00000000C898: 0AFA0B7D
	v_mul_f32_e32 v126, v126, v6                               // 00000000C89C: 0AFC0D7E
	v_mul_f32_e32 v127, v127, v7                               // 00000000C8A0: 0AFE0F7F
	v_mul_f32_e32 v124, v124, v204                             // 00000000C8A4: 0AF9997C
	v_mul_f32_e32 v125, v125, v205                             // 00000000C8A8: 0AFB9B7D
	v_mul_f32_e32 v126, v126, v206                             // 00000000C8AC: 0AFD9D7E
	v_mul_f32_e32 v127, v127, v207                             // 00000000C8B0: 0AFF9F7F
	v_mul_f32_e64 v4, -v128, s6                                // 00000000C8B4: D1050004 20000D80
	v_mul_f32_e64 v5, -v129, s6                                // 00000000C8BC: D1050005 20000D81
	v_mul_f32_e64 v6, -v130, s6                                // 00000000C8C4: D1050006 20000D82
	v_mul_f32_e64 v7, -v131, s6                                // 00000000C8CC: D1050007 20000D83
	v_exp_f32_e32 v4, v4                                       // 00000000C8D4: 7E084104
	v_exp_f32_e32 v5, v5                                       // 00000000C8D8: 7E0A4105
	v_exp_f32_e32 v6, v6                                       // 00000000C8DC: 7E0C4106
	v_exp_f32_e32 v7, v7                                       // 00000000C8E0: 7E0E4107
	v_add_f32_e64 v4, v4, 1.0                                  // 00000000C8E4: D1010004 0001E504
	v_add_f32_e64 v5, v5, 1.0                                  // 00000000C8EC: D1010005 0001E505
	v_add_f32_e64 v6, v6, 1.0                                  // 00000000C8F4: D1010006 0001E506
	v_add_f32_e64 v7, v7, 1.0                                  // 00000000C8FC: D1010007 0001E507
	v_rcp_f32_e32 v4, v4                                       // 00000000C904: 7E084504
	v_rcp_f32_e32 v5, v5                                       // 00000000C908: 7E0A4505
	v_rcp_f32_e32 v6, v6                                       // 00000000C90C: 7E0C4506
	v_rcp_f32_e32 v7, v7                                       // 00000000C910: 7E0E4507
	v_mul_f32_e32 v128, v128, v4                               // 00000000C914: 0B000980
	v_mul_f32_e32 v129, v129, v5                               // 00000000C918: 0B020B81
	v_mul_f32_e32 v130, v130, v6                               // 00000000C91C: 0B040D82
	v_mul_f32_e32 v131, v131, v7                               // 00000000C920: 0B060F83
	v_mul_f32_e32 v128, v128, v208                             // 00000000C924: 0B01A180
	v_mul_f32_e32 v129, v129, v209                             // 00000000C928: 0B03A381
	v_mul_f32_e32 v130, v130, v210                             // 00000000C92C: 0B05A582
	v_mul_f32_e32 v131, v131, v211                             // 00000000C930: 0B07A783
	v_mul_f32_e64 v4, -v132, s6                                // 00000000C934: D1050004 20000D84
	v_mul_f32_e64 v5, -v133, s6                                // 00000000C93C: D1050005 20000D85
	v_mul_f32_e64 v6, -v134, s6                                // 00000000C944: D1050006 20000D86
	v_mul_f32_e64 v7, -v135, s6                                // 00000000C94C: D1050007 20000D87
	v_exp_f32_e32 v4, v4                                       // 00000000C954: 7E084104
	v_exp_f32_e32 v5, v5                                       // 00000000C958: 7E0A4105
	v_exp_f32_e32 v6, v6                                       // 00000000C95C: 7E0C4106
	v_exp_f32_e32 v7, v7                                       // 00000000C960: 7E0E4107
	v_add_f32_e64 v4, v4, 1.0                                  // 00000000C964: D1010004 0001E504
	v_add_f32_e64 v5, v5, 1.0                                  // 00000000C96C: D1010005 0001E505
	v_add_f32_e64 v6, v6, 1.0                                  // 00000000C974: D1010006 0001E506
	v_add_f32_e64 v7, v7, 1.0                                  // 00000000C97C: D1010007 0001E507
	v_rcp_f32_e32 v4, v4                                       // 00000000C984: 7E084504
	v_rcp_f32_e32 v5, v5                                       // 00000000C988: 7E0A4505
	v_rcp_f32_e32 v6, v6                                       // 00000000C98C: 7E0C4506
	v_rcp_f32_e32 v7, v7                                       // 00000000C990: 7E0E4507
	v_mul_f32_e32 v132, v132, v4                               // 00000000C994: 0B080984
	v_mul_f32_e32 v133, v133, v5                               // 00000000C998: 0B0A0B85
	v_mul_f32_e32 v134, v134, v6                               // 00000000C99C: 0B0C0D86
	v_mul_f32_e32 v135, v135, v7                               // 00000000C9A0: 0B0E0F87
	v_mul_f32_e32 v132, v132, v212                             // 00000000C9A4: 0B09A984
	v_mul_f32_e32 v133, v133, v213                             // 00000000C9A8: 0B0BAB85
	v_mul_f32_e32 v134, v134, v214                             // 00000000C9AC: 0B0DAD86
	v_mul_f32_e32 v135, v135, v215                             // 00000000C9B0: 0B0FAF87
	v_mul_f32_e64 v4, -v136, s6                                // 00000000C9B4: D1050004 20000D88
	v_mul_f32_e64 v5, -v137, s6                                // 00000000C9BC: D1050005 20000D89
	v_mul_f32_e64 v6, -v138, s6                                // 00000000C9C4: D1050006 20000D8A
	v_mul_f32_e64 v7, -v139, s6                                // 00000000C9CC: D1050007 20000D8B
	v_exp_f32_e32 v4, v4                                       // 00000000C9D4: 7E084104
	v_exp_f32_e32 v5, v5                                       // 00000000C9D8: 7E0A4105
	v_exp_f32_e32 v6, v6                                       // 00000000C9DC: 7E0C4106
	v_exp_f32_e32 v7, v7                                       // 00000000C9E0: 7E0E4107
	v_add_f32_e64 v4, v4, 1.0                                  // 00000000C9E4: D1010004 0001E504
	v_add_f32_e64 v5, v5, 1.0                                  // 00000000C9EC: D1010005 0001E505
	v_add_f32_e64 v6, v6, 1.0                                  // 00000000C9F4: D1010006 0001E506
	v_add_f32_e64 v7, v7, 1.0                                  // 00000000C9FC: D1010007 0001E507
	v_rcp_f32_e32 v4, v4                                       // 00000000CA04: 7E084504
	v_rcp_f32_e32 v5, v5                                       // 00000000CA08: 7E0A4505
	v_rcp_f32_e32 v6, v6                                       // 00000000CA0C: 7E0C4506
	v_rcp_f32_e32 v7, v7                                       // 00000000CA10: 7E0E4507
	v_mul_f32_e32 v136, v136, v4                               // 00000000CA14: 0B100988
	v_mul_f32_e32 v137, v137, v5                               // 00000000CA18: 0B120B89
	v_mul_f32_e32 v138, v138, v6                               // 00000000CA1C: 0B140D8A
	v_mul_f32_e32 v139, v139, v7                               // 00000000CA20: 0B160F8B
	v_mul_f32_e32 v136, v136, v216                             // 00000000CA24: 0B11B188
	v_mul_f32_e32 v137, v137, v217                             // 00000000CA28: 0B13B389
	v_mul_f32_e32 v138, v138, v218                             // 00000000CA2C: 0B15B58A
	v_mul_f32_e32 v139, v139, v219                             // 00000000CA30: 0B17B78B
	v_mul_f32_e64 v4, -v140, s6                                // 00000000CA34: D1050004 20000D8C
	v_mul_f32_e64 v5, -v141, s6                                // 00000000CA3C: D1050005 20000D8D
	v_mul_f32_e64 v6, -v142, s6                                // 00000000CA44: D1050006 20000D8E
	v_mul_f32_e64 v7, -v143, s6                                // 00000000CA4C: D1050007 20000D8F
	v_exp_f32_e32 v4, v4                                       // 00000000CA54: 7E084104
	v_exp_f32_e32 v5, v5                                       // 00000000CA58: 7E0A4105
	v_exp_f32_e32 v6, v6                                       // 00000000CA5C: 7E0C4106
	v_exp_f32_e32 v7, v7                                       // 00000000CA60: 7E0E4107
	v_add_f32_e64 v4, v4, 1.0                                  // 00000000CA64: D1010004 0001E504
	v_add_f32_e64 v5, v5, 1.0                                  // 00000000CA6C: D1010005 0001E505
	v_add_f32_e64 v6, v6, 1.0                                  // 00000000CA74: D1010006 0001E506
	v_add_f32_e64 v7, v7, 1.0                                  // 00000000CA7C: D1010007 0001E507
	v_rcp_f32_e32 v4, v4                                       // 00000000CA84: 7E084504
	v_rcp_f32_e32 v5, v5                                       // 00000000CA88: 7E0A4505
	v_rcp_f32_e32 v6, v6                                       // 00000000CA8C: 7E0C4506
	v_rcp_f32_e32 v7, v7                                       // 00000000CA90: 7E0E4507
	v_mul_f32_e32 v140, v140, v4                               // 00000000CA94: 0B18098C
	v_mul_f32_e32 v141, v141, v5                               // 00000000CA98: 0B1A0B8D
	v_mul_f32_e32 v142, v142, v6                               // 00000000CA9C: 0B1C0D8E
	v_mul_f32_e32 v143, v143, v7                               // 00000000CAA0: 0B1E0F8F
	v_mul_f32_e32 v140, v140, v220                             // 00000000CAA4: 0B19B98C
	v_mul_f32_e32 v141, v141, v221                             // 00000000CAA8: 0B1BBB8D
	v_mul_f32_e32 v142, v142, v222                             // 00000000CAAC: 0B1DBD8E
	v_mul_f32_e32 v143, v143, v223                             // 00000000CAB0: 0B1FBF8F

000000000000cab4 <label_2830>:
	s_cmp_eq_u32 s7, 0                                         // 00000000CAB4: BF068007
	s_cbranch_scc0 label_2843                                  // 00000000CAB8: BF840011
	v_and_b32_e32 v4, 15, v0                                   // 00000000CABC: 2608008F
	v_lshlrev_b32_e32 v4, 2, v4                                // 00000000CAC0: 24080882
	buffer_load_dword v28, v4, s[12:15], 0 offen               // 00000000CAC4: E0501000 80031C04
	v_add_u32_e32 v4, 64, v4                                   // 00000000CACC: 680808C0
	buffer_load_dword v29, v4, s[12:15], 0 offen               // 00000000CAD0: E0501000 80031D04
	v_add_u32_e32 v4, 64, v4                                   // 00000000CAD8: 680808C0
	buffer_load_dword v30, v4, s[12:15], 0 offen               // 00000000CADC: E0501000 80031E04
	v_add_u32_e32 v4, 64, v4                                   // 00000000CAE4: 680808C0
	buffer_load_dword v31, v4, s[12:15], 0 offen               // 00000000CAE8: E0501000 80031F04
	v_add_u32_e32 v4, 64, v4                                   // 00000000CAF0: 680808C0
	buffer_load_dword v32, v4, s[12:15], 0 offen               // 00000000CAF4: E0501000 80032004
	v_add_u32_e32 v4, 64, v4                                   // 00000000CAFC: 680808C0

000000000000cb00 <label_2843>:
	v_lshlrev_b32_e32 v4, 2, v0                                // 00000000CB00: 24080082
	s_mul_i32 s60, 0x100, s7                                   // 00000000CB04: 923C07FF 00000100
	v_add_u32_e32 v154, s60, v4                                // 00000000CB0C: 6934083C
	v_and_b32_e32 v4, 15, v0                                   // 00000000CB10: 2608008F
	v_lshlrev_b32_e32 v155, 2, v4                              // 00000000CB14: 25360882
	s_waitcnt lgkmcnt(0)                                       // 00000000CB18: BF8CC07F
	s_barrier                                                  // 00000000CB1C: BF8A0000
	v_mov_b32_e32 v144, 0x358637bd                             // 00000000CB20: 7F2002FF 358637BD
	v_max3_f32 v144, |v64|, |v65|, v144                        // 00000000CB28: D1D30390 06428340
	v_max3_f32 v144, |v66|, |v67|, v144                        // 00000000CB30: D1D30390 06428742
	v_max3_f32 v144, |v84|, |v85|, v144                        // 00000000CB38: D1D30390 0642AB54
	v_max3_f32 v144, |v86|, |v87|, v144                        // 00000000CB40: D1D30390 0642AF56
	ds_write_b32 v154, v144                                    // 00000000CB48: D81A0000 0000909A
	s_waitcnt lgkmcnt(0)                                       // 00000000CB50: BF8CC07F
	s_barrier                                                  // 00000000CB54: BF8A0000
	ds_read_b32 v4, v155                                       // 00000000CB58: D86C0000 0400009B
	ds_read_b32 v5, v155 offset:64                             // 00000000CB60: D86C0040 0500009B
	ds_read_b32 v6, v155 offset:128                            // 00000000CB68: D86C0080 0600009B
	ds_read_b32 v7, v155 offset:192                            // 00000000CB70: D86C00C0 0700009B
	ds_read_b32 v8, v155 offset:256                            // 00000000CB78: D86C0100 0800009B
	ds_read_b32 v9, v155 offset:320                            // 00000000CB80: D86C0140 0900009B
	ds_read_b32 v10, v155 offset:384                           // 00000000CB88: D86C0180 0A00009B
	ds_read_b32 v11, v155 offset:448                           // 00000000CB90: D86C01C0 0B00009B
	ds_read_b32 v12, v155 offset:512                           // 00000000CB98: D86C0200 0C00009B
	ds_read_b32 v13, v155 offset:576                           // 00000000CBA0: D86C0240 0D00009B
	ds_read_b32 v14, v155 offset:640                           // 00000000CBA8: D86C0280 0E00009B
	ds_read_b32 v15, v155 offset:704                           // 00000000CBB0: D86C02C0 0F00009B
	ds_read_b32 v16, v155 offset:768                           // 00000000CBB8: D86C0300 1000009B
	ds_read_b32 v17, v155 offset:832                           // 00000000CBC0: D86C0340 1100009B
	ds_read_b32 v18, v155 offset:896                           // 00000000CBC8: D86C0380 1200009B
	ds_read_b32 v19, v155 offset:960                           // 00000000CBD0: D86C03C0 1300009B
	s_waitcnt lgkmcnt(0)                                       // 00000000CBD8: BF8CC07F
	s_barrier                                                  // 00000000CBDC: BF8A0000
	v_max3_f32 v144, |v4|, |v5|, v144                          // 00000000CBE0: D1D30390 06420B04
	v_max3_f32 v144, |v6|, |v7|, v144                          // 00000000CBE8: D1D30390 06420F06
	v_max3_f32 v144, |v8|, |v9|, v144                          // 00000000CBF0: D1D30390 06421308
	v_max3_f32 v144, |v10|, |v11|, v144                        // 00000000CBF8: D1D30390 0642170A
	v_max3_f32 v144, |v12|, |v13|, v144                        // 00000000CC00: D1D30390 06421B0C
	v_max3_f32 v144, |v14|, |v15|, v144                        // 00000000CC08: D1D30390 06421F0E
	v_max3_f32 v144, |v16|, |v17|, v144                        // 00000000CC10: D1D30390 06422310
	v_max3_f32 v144, |v18|, |v19|, v144                        // 00000000CC18: D1D30390 06422712
	v_rcp_f32_e32 v144, v144                                   // 00000000CC20: 7F204590
	v_mov_b32_e32 v4, 0x43700000                               // 00000000CC24: 7E0802FF 43700000
	v_mul_f32_e32 v144, v4, v144                               // 00000000CC2C: 0B212104
	v_mov_b32_e32 v4, v144                                     // 00000000CC30: 7E080390
	v_mov_b32_e32 v5, v4                                       // 00000000CC34: 7E0A0304
	v_pk_mul_f32 v[64:65], v[4:5], v[64:65]                    // 00000000CC38: D3B14040 18028104
	v_pk_mul_f32 v[66:67], v[4:5], v[66:67]                    // 00000000CC40: D3B14042 18028504
	v_cvt_pk_fp8_f32 v64, v64, v65                             // 00000000CC48: D2A20040 00028340
	v_cvt_pk_fp8_f32 v64, v66, v67 op_sel:[0,0,1]              // 00000000CC50: D2A24040 00028742
	v_pk_mul_f32 v[84:85], v[4:5], v[84:85]                    // 00000000CC58: D3B14054 1802A904
	v_pk_mul_f32 v[86:87], v[4:5], v[86:87]                    // 00000000CC60: D3B14056 1802AD04
	v_cvt_pk_fp8_f32 v84, v84, v85                             // 00000000CC68: D2A20054 0002AB54
	v_cvt_pk_fp8_f32 v84, v86, v87 op_sel:[0,0,1]              // 00000000CC70: D2A24054 0002AF56
	v_rcp_f32_e32 v144, v144                                   // 00000000CC78: 7F204590
	v_mov_b32_e32 v149, 0x358637bd                             // 00000000CC7C: 7F2A02FF 358637BD
	v_max3_f32 v149, |v104|, |v105|, v149                      // 00000000CC84: D1D30395 0656D368
	v_max3_f32 v149, |v106|, |v107|, v149                      // 00000000CC8C: D1D30395 0656D76A
	v_max3_f32 v149, |v124|, |v125|, v149                      // 00000000CC94: D1D30395 0656FB7C
	v_max3_f32 v149, |v126|, |v127|, v149                      // 00000000CC9C: D1D30395 0656FF7E
	ds_write_b32 v154, v149                                    // 00000000CCA4: D81A0000 0000959A
	s_waitcnt lgkmcnt(0)                                       // 00000000CCAC: BF8CC07F
	s_barrier                                                  // 00000000CCB0: BF8A0000
	ds_read_b32 v4, v155                                       // 00000000CCB4: D86C0000 0400009B
	ds_read_b32 v5, v155 offset:64                             // 00000000CCBC: D86C0040 0500009B
	ds_read_b32 v6, v155 offset:128                            // 00000000CCC4: D86C0080 0600009B
	ds_read_b32 v7, v155 offset:192                            // 00000000CCCC: D86C00C0 0700009B
	ds_read_b32 v8, v155 offset:256                            // 00000000CCD4: D86C0100 0800009B
	ds_read_b32 v9, v155 offset:320                            // 00000000CCDC: D86C0140 0900009B
	ds_read_b32 v10, v155 offset:384                           // 00000000CCE4: D86C0180 0A00009B
	ds_read_b32 v11, v155 offset:448                           // 00000000CCEC: D86C01C0 0B00009B
	ds_read_b32 v12, v155 offset:512                           // 00000000CCF4: D86C0200 0C00009B
	ds_read_b32 v13, v155 offset:576                           // 00000000CCFC: D86C0240 0D00009B
	ds_read_b32 v14, v155 offset:640                           // 00000000CD04: D86C0280 0E00009B
	ds_read_b32 v15, v155 offset:704                           // 00000000CD0C: D86C02C0 0F00009B
	ds_read_b32 v16, v155 offset:768                           // 00000000CD14: D86C0300 1000009B
	ds_read_b32 v17, v155 offset:832                           // 00000000CD1C: D86C0340 1100009B
	ds_read_b32 v18, v155 offset:896                           // 00000000CD24: D86C0380 1200009B
	ds_read_b32 v19, v155 offset:960                           // 00000000CD2C: D86C03C0 1300009B
	s_waitcnt lgkmcnt(0)                                       // 00000000CD34: BF8CC07F
	s_barrier                                                  // 00000000CD38: BF8A0000
	v_max3_f32 v149, |v4|, |v5|, v149                          // 00000000CD3C: D1D30395 06560B04
	v_max3_f32 v149, |v6|, |v7|, v149                          // 00000000CD44: D1D30395 06560F06
	v_max3_f32 v149, |v8|, |v9|, v149                          // 00000000CD4C: D1D30395 06561308
	v_max3_f32 v149, |v10|, |v11|, v149                        // 00000000CD54: D1D30395 0656170A
	v_max3_f32 v149, |v12|, |v13|, v149                        // 00000000CD5C: D1D30395 06561B0C
	v_max3_f32 v149, |v14|, |v15|, v149                        // 00000000CD64: D1D30395 06561F0E
	v_max3_f32 v149, |v16|, |v17|, v149                        // 00000000CD6C: D1D30395 06562310
	v_max3_f32 v149, |v18|, |v19|, v149                        // 00000000CD74: D1D30395 06562712
	v_rcp_f32_e32 v149, v149                                   // 00000000CD7C: 7F2A4595
	v_mov_b32_e32 v4, 0x43700000                               // 00000000CD80: 7E0802FF 43700000
	v_mul_f32_e32 v149, v4, v149                               // 00000000CD88: 0B2B2B04
	v_mov_b32_e32 v4, v149                                     // 00000000CD8C: 7E080395
	v_mov_b32_e32 v5, v4                                       // 00000000CD90: 7E0A0304
	v_pk_mul_f32 v[104:105], v[4:5], v[104:105]                // 00000000CD94: D3B14068 1802D104
	v_pk_mul_f32 v[106:107], v[4:5], v[106:107]                // 00000000CD9C: D3B1406A 1802D504
	v_cvt_pk_fp8_f32 v104, v104, v105                          // 00000000CDA4: D2A20068 0002D368
	v_cvt_pk_fp8_f32 v104, v106, v107 op_sel:[0,0,1]           // 00000000CDAC: D2A24068 0002D76A
	v_pk_mul_f32 v[124:125], v[4:5], v[124:125]                // 00000000CDB4: D3B1407C 1802F904
	v_pk_mul_f32 v[126:127], v[4:5], v[126:127]                // 00000000CDBC: D3B1407E 1802FD04
	v_cvt_pk_fp8_f32 v124, v124, v125                          // 00000000CDC4: D2A2007C 0002FB7C
	v_cvt_pk_fp8_f32 v124, v126, v127 op_sel:[0,0,1]           // 00000000CDCC: D2A2407C 0002FF7E
	v_rcp_f32_e32 v149, v149                                   // 00000000CDD4: 7F2A4595
	v_mov_b32_e32 v145, 0x358637bd                             // 00000000CDD8: 7F2202FF 358637BD
	v_max3_f32 v145, |v68|, |v69|, v145                        // 00000000CDE0: D1D30391 06468B44
	v_max3_f32 v145, |v70|, |v71|, v145                        // 00000000CDE8: D1D30391 06468F46
	v_max3_f32 v145, |v88|, |v89|, v145                        // 00000000CDF0: D1D30391 0646B358
	v_max3_f32 v145, |v90|, |v91|, v145                        // 00000000CDF8: D1D30391 0646B75A
	ds_write_b32 v154, v145                                    // 00000000CE00: D81A0000 0000919A
	s_waitcnt lgkmcnt(0)                                       // 00000000CE08: BF8CC07F
	s_barrier                                                  // 00000000CE0C: BF8A0000
	ds_read_b32 v4, v155                                       // 00000000CE10: D86C0000 0400009B
	ds_read_b32 v5, v155 offset:64                             // 00000000CE18: D86C0040 0500009B
	ds_read_b32 v6, v155 offset:128                            // 00000000CE20: D86C0080 0600009B
	ds_read_b32 v7, v155 offset:192                            // 00000000CE28: D86C00C0 0700009B
	ds_read_b32 v8, v155 offset:256                            // 00000000CE30: D86C0100 0800009B
	ds_read_b32 v9, v155 offset:320                            // 00000000CE38: D86C0140 0900009B
	ds_read_b32 v10, v155 offset:384                           // 00000000CE40: D86C0180 0A00009B
	ds_read_b32 v11, v155 offset:448                           // 00000000CE48: D86C01C0 0B00009B
	ds_read_b32 v12, v155 offset:512                           // 00000000CE50: D86C0200 0C00009B
	ds_read_b32 v13, v155 offset:576                           // 00000000CE58: D86C0240 0D00009B
	ds_read_b32 v14, v155 offset:640                           // 00000000CE60: D86C0280 0E00009B
	ds_read_b32 v15, v155 offset:704                           // 00000000CE68: D86C02C0 0F00009B
	ds_read_b32 v16, v155 offset:768                           // 00000000CE70: D86C0300 1000009B
	ds_read_b32 v17, v155 offset:832                           // 00000000CE78: D86C0340 1100009B
	ds_read_b32 v18, v155 offset:896                           // 00000000CE80: D86C0380 1200009B
	ds_read_b32 v19, v155 offset:960                           // 00000000CE88: D86C03C0 1300009B
	s_waitcnt lgkmcnt(0)                                       // 00000000CE90: BF8CC07F
	s_barrier                                                  // 00000000CE94: BF8A0000
	v_max3_f32 v145, |v4|, |v5|, v145                          // 00000000CE98: D1D30391 06460B04
	v_max3_f32 v145, |v6|, |v7|, v145                          // 00000000CEA0: D1D30391 06460F06
	v_max3_f32 v145, |v8|, |v9|, v145                          // 00000000CEA8: D1D30391 06461308
	v_max3_f32 v145, |v10|, |v11|, v145                        // 00000000CEB0: D1D30391 0646170A
	v_max3_f32 v145, |v12|, |v13|, v145                        // 00000000CEB8: D1D30391 06461B0C
	v_max3_f32 v145, |v14|, |v15|, v145                        // 00000000CEC0: D1D30391 06461F0E
	v_max3_f32 v145, |v16|, |v17|, v145                        // 00000000CEC8: D1D30391 06462310
	v_max3_f32 v145, |v18|, |v19|, v145                        // 00000000CED0: D1D30391 06462712
	v_rcp_f32_e32 v145, v145                                   // 00000000CED8: 7F224591
	v_mov_b32_e32 v4, 0x43700000                               // 00000000CEDC: 7E0802FF 43700000
	v_mul_f32_e32 v145, v4, v145                               // 00000000CEE4: 0B232304
	v_mov_b32_e32 v4, v145                                     // 00000000CEE8: 7E080391
	v_mov_b32_e32 v5, v4                                       // 00000000CEEC: 7E0A0304
	v_pk_mul_f32 v[68:69], v[4:5], v[68:69]                    // 00000000CEF0: D3B14044 18028904
	v_pk_mul_f32 v[70:71], v[4:5], v[70:71]                    // 00000000CEF8: D3B14046 18028D04
	v_cvt_pk_fp8_f32 v68, v68, v69                             // 00000000CF00: D2A20044 00028B44
	v_cvt_pk_fp8_f32 v68, v70, v71 op_sel:[0,0,1]              // 00000000CF08: D2A24044 00028F46
	v_pk_mul_f32 v[88:89], v[4:5], v[88:89]                    // 00000000CF10: D3B14058 1802B104
	v_pk_mul_f32 v[90:91], v[4:5], v[90:91]                    // 00000000CF18: D3B1405A 1802B504
	v_cvt_pk_fp8_f32 v88, v88, v89                             // 00000000CF20: D2A20058 0002B358
	v_cvt_pk_fp8_f32 v88, v90, v91 op_sel:[0,0,1]              // 00000000CF28: D2A24058 0002B75A
	v_rcp_f32_e32 v145, v145                                   // 00000000CF30: 7F224591
	v_mov_b32_e32 v150, 0x358637bd                             // 00000000CF34: 7F2C02FF 358637BD
	v_max3_f32 v150, |v108|, |v109|, v150                      // 00000000CF3C: D1D30396 065ADB6C
	v_max3_f32 v150, |v110|, |v111|, v150                      // 00000000CF44: D1D30396 065ADF6E
	v_max3_f32 v150, |v128|, |v129|, v150                      // 00000000CF4C: D1D30396 065B0380
	v_max3_f32 v150, |v130|, |v131|, v150                      // 00000000CF54: D1D30396 065B0782
	ds_write_b32 v154, v150                                    // 00000000CF5C: D81A0000 0000969A
	s_waitcnt lgkmcnt(0)                                       // 00000000CF64: BF8CC07F
	s_barrier                                                  // 00000000CF68: BF8A0000
	ds_read_b32 v4, v155                                       // 00000000CF6C: D86C0000 0400009B
	ds_read_b32 v5, v155 offset:64                             // 00000000CF74: D86C0040 0500009B
	ds_read_b32 v6, v155 offset:128                            // 00000000CF7C: D86C0080 0600009B
	ds_read_b32 v7, v155 offset:192                            // 00000000CF84: D86C00C0 0700009B
	ds_read_b32 v8, v155 offset:256                            // 00000000CF8C: D86C0100 0800009B
	ds_read_b32 v9, v155 offset:320                            // 00000000CF94: D86C0140 0900009B
	ds_read_b32 v10, v155 offset:384                           // 00000000CF9C: D86C0180 0A00009B
	ds_read_b32 v11, v155 offset:448                           // 00000000CFA4: D86C01C0 0B00009B
	ds_read_b32 v12, v155 offset:512                           // 00000000CFAC: D86C0200 0C00009B
	ds_read_b32 v13, v155 offset:576                           // 00000000CFB4: D86C0240 0D00009B
	ds_read_b32 v14, v155 offset:640                           // 00000000CFBC: D86C0280 0E00009B
	ds_read_b32 v15, v155 offset:704                           // 00000000CFC4: D86C02C0 0F00009B
	ds_read_b32 v16, v155 offset:768                           // 00000000CFCC: D86C0300 1000009B
	ds_read_b32 v17, v155 offset:832                           // 00000000CFD4: D86C0340 1100009B
	ds_read_b32 v18, v155 offset:896                           // 00000000CFDC: D86C0380 1200009B
	ds_read_b32 v19, v155 offset:960                           // 00000000CFE4: D86C03C0 1300009B
	s_waitcnt lgkmcnt(0)                                       // 00000000CFEC: BF8CC07F
	s_barrier                                                  // 00000000CFF0: BF8A0000
	v_max3_f32 v150, |v4|, |v5|, v150                          // 00000000CFF4: D1D30396 065A0B04
	v_max3_f32 v150, |v6|, |v7|, v150                          // 00000000CFFC: D1D30396 065A0F06
	v_max3_f32 v150, |v8|, |v9|, v150                          // 00000000D004: D1D30396 065A1308
	v_max3_f32 v150, |v10|, |v11|, v150                        // 00000000D00C: D1D30396 065A170A
	v_max3_f32 v150, |v12|, |v13|, v150                        // 00000000D014: D1D30396 065A1B0C
	v_max3_f32 v150, |v14|, |v15|, v150                        // 00000000D01C: D1D30396 065A1F0E
	v_max3_f32 v150, |v16|, |v17|, v150                        // 00000000D024: D1D30396 065A2310
	v_max3_f32 v150, |v18|, |v19|, v150                        // 00000000D02C: D1D30396 065A2712
	v_rcp_f32_e32 v150, v150                                   // 00000000D034: 7F2C4596
	v_mov_b32_e32 v4, 0x43700000                               // 00000000D038: 7E0802FF 43700000
	v_mul_f32_e32 v150, v4, v150                               // 00000000D040: 0B2D2D04
	v_mov_b32_e32 v4, v150                                     // 00000000D044: 7E080396
	v_mov_b32_e32 v5, v4                                       // 00000000D048: 7E0A0304
	v_pk_mul_f32 v[108:109], v[4:5], v[108:109]                // 00000000D04C: D3B1406C 1802D904
	v_pk_mul_f32 v[110:111], v[4:5], v[110:111]                // 00000000D054: D3B1406E 1802DD04
	v_cvt_pk_fp8_f32 v108, v108, v109                          // 00000000D05C: D2A2006C 0002DB6C
	v_cvt_pk_fp8_f32 v108, v110, v111 op_sel:[0,0,1]           // 00000000D064: D2A2406C 0002DF6E
	v_pk_mul_f32 v[128:129], v[4:5], v[128:129]                // 00000000D06C: D3B14080 18030104
	v_pk_mul_f32 v[130:131], v[4:5], v[130:131]                // 00000000D074: D3B14082 18030504
	v_cvt_pk_fp8_f32 v128, v128, v129                          // 00000000D07C: D2A20080 00030380
	v_cvt_pk_fp8_f32 v128, v130, v131 op_sel:[0,0,1]           // 00000000D084: D2A24080 00030782
	v_rcp_f32_e32 v150, v150                                   // 00000000D08C: 7F2C4596
	v_mov_b32_e32 v146, 0x358637bd                             // 00000000D090: 7F2402FF 358637BD
	v_max3_f32 v146, |v72|, |v73|, v146                        // 00000000D098: D1D30392 064A9348
	v_max3_f32 v146, |v74|, |v75|, v146                        // 00000000D0A0: D1D30392 064A974A
	v_max3_f32 v146, |v92|, |v93|, v146                        // 00000000D0A8: D1D30392 064ABB5C
	v_max3_f32 v146, |v94|, |v95|, v146                        // 00000000D0B0: D1D30392 064ABF5E
	ds_write_b32 v154, v146                                    // 00000000D0B8: D81A0000 0000929A
	s_waitcnt lgkmcnt(0)                                       // 00000000D0C0: BF8CC07F
	s_barrier                                                  // 00000000D0C4: BF8A0000
	ds_read_b32 v4, v155                                       // 00000000D0C8: D86C0000 0400009B
	ds_read_b32 v5, v155 offset:64                             // 00000000D0D0: D86C0040 0500009B
	ds_read_b32 v6, v155 offset:128                            // 00000000D0D8: D86C0080 0600009B
	ds_read_b32 v7, v155 offset:192                            // 00000000D0E0: D86C00C0 0700009B
	ds_read_b32 v8, v155 offset:256                            // 00000000D0E8: D86C0100 0800009B
	ds_read_b32 v9, v155 offset:320                            // 00000000D0F0: D86C0140 0900009B
	ds_read_b32 v10, v155 offset:384                           // 00000000D0F8: D86C0180 0A00009B
	ds_read_b32 v11, v155 offset:448                           // 00000000D100: D86C01C0 0B00009B
	ds_read_b32 v12, v155 offset:512                           // 00000000D108: D86C0200 0C00009B
	ds_read_b32 v13, v155 offset:576                           // 00000000D110: D86C0240 0D00009B
	ds_read_b32 v14, v155 offset:640                           // 00000000D118: D86C0280 0E00009B
	ds_read_b32 v15, v155 offset:704                           // 00000000D120: D86C02C0 0F00009B
	ds_read_b32 v16, v155 offset:768                           // 00000000D128: D86C0300 1000009B
	ds_read_b32 v17, v155 offset:832                           // 00000000D130: D86C0340 1100009B
	ds_read_b32 v18, v155 offset:896                           // 00000000D138: D86C0380 1200009B
	ds_read_b32 v19, v155 offset:960                           // 00000000D140: D86C03C0 1300009B
	s_waitcnt lgkmcnt(0)                                       // 00000000D148: BF8CC07F
	s_barrier                                                  // 00000000D14C: BF8A0000
	v_max3_f32 v146, |v4|, |v5|, v146                          // 00000000D150: D1D30392 064A0B04
	v_max3_f32 v146, |v6|, |v7|, v146                          // 00000000D158: D1D30392 064A0F06
	v_max3_f32 v146, |v8|, |v9|, v146                          // 00000000D160: D1D30392 064A1308
	v_max3_f32 v146, |v10|, |v11|, v146                        // 00000000D168: D1D30392 064A170A
	v_max3_f32 v146, |v12|, |v13|, v146                        // 00000000D170: D1D30392 064A1B0C
	v_max3_f32 v146, |v14|, |v15|, v146                        // 00000000D178: D1D30392 064A1F0E
	v_max3_f32 v146, |v16|, |v17|, v146                        // 00000000D180: D1D30392 064A2310
	v_max3_f32 v146, |v18|, |v19|, v146                        // 00000000D188: D1D30392 064A2712
	v_rcp_f32_e32 v146, v146                                   // 00000000D190: 7F244592
	v_mov_b32_e32 v4, 0x43700000                               // 00000000D194: 7E0802FF 43700000
	v_mul_f32_e32 v146, v4, v146                               // 00000000D19C: 0B252504
	v_mov_b32_e32 v4, v146                                     // 00000000D1A0: 7E080392
	v_mov_b32_e32 v5, v4                                       // 00000000D1A4: 7E0A0304
	v_pk_mul_f32 v[72:73], v[4:5], v[72:73]                    // 00000000D1A8: D3B14048 18029104
	v_pk_mul_f32 v[74:75], v[4:5], v[74:75]                    // 00000000D1B0: D3B1404A 18029504
	v_cvt_pk_fp8_f32 v72, v72, v73                             // 00000000D1B8: D2A20048 00029348
	v_cvt_pk_fp8_f32 v72, v74, v75 op_sel:[0,0,1]              // 00000000D1C0: D2A24048 0002974A
	v_pk_mul_f32 v[92:93], v[4:5], v[92:93]                    // 00000000D1C8: D3B1405C 1802B904
	v_pk_mul_f32 v[94:95], v[4:5], v[94:95]                    // 00000000D1D0: D3B1405E 1802BD04
	v_cvt_pk_fp8_f32 v92, v92, v93                             // 00000000D1D8: D2A2005C 0002BB5C
	v_cvt_pk_fp8_f32 v92, v94, v95 op_sel:[0,0,1]              // 00000000D1E0: D2A2405C 0002BF5E
	v_rcp_f32_e32 v146, v146                                   // 00000000D1E8: 7F244592
	v_mov_b32_e32 v151, 0x358637bd                             // 00000000D1EC: 7F2E02FF 358637BD
	v_max3_f32 v151, |v112|, |v113|, v151                      // 00000000D1F4: D1D30397 065EE370
	v_max3_f32 v151, |v114|, |v115|, v151                      // 00000000D1FC: D1D30397 065EE772
	v_max3_f32 v151, |v132|, |v133|, v151                      // 00000000D204: D1D30397 065F0B84
	v_max3_f32 v151, |v134|, |v135|, v151                      // 00000000D20C: D1D30397 065F0F86
	ds_write_b32 v154, v151                                    // 00000000D214: D81A0000 0000979A
	s_waitcnt lgkmcnt(0)                                       // 00000000D21C: BF8CC07F
	s_barrier                                                  // 00000000D220: BF8A0000
	ds_read_b32 v4, v155                                       // 00000000D224: D86C0000 0400009B
	ds_read_b32 v5, v155 offset:64                             // 00000000D22C: D86C0040 0500009B
	ds_read_b32 v6, v155 offset:128                            // 00000000D234: D86C0080 0600009B
	ds_read_b32 v7, v155 offset:192                            // 00000000D23C: D86C00C0 0700009B
	ds_read_b32 v8, v155 offset:256                            // 00000000D244: D86C0100 0800009B
	ds_read_b32 v9, v155 offset:320                            // 00000000D24C: D86C0140 0900009B
	ds_read_b32 v10, v155 offset:384                           // 00000000D254: D86C0180 0A00009B
	ds_read_b32 v11, v155 offset:448                           // 00000000D25C: D86C01C0 0B00009B
	ds_read_b32 v12, v155 offset:512                           // 00000000D264: D86C0200 0C00009B
	ds_read_b32 v13, v155 offset:576                           // 00000000D26C: D86C0240 0D00009B
	ds_read_b32 v14, v155 offset:640                           // 00000000D274: D86C0280 0E00009B
	ds_read_b32 v15, v155 offset:704                           // 00000000D27C: D86C02C0 0F00009B
	ds_read_b32 v16, v155 offset:768                           // 00000000D284: D86C0300 1000009B
	ds_read_b32 v17, v155 offset:832                           // 00000000D28C: D86C0340 1100009B
	ds_read_b32 v18, v155 offset:896                           // 00000000D294: D86C0380 1200009B
	ds_read_b32 v19, v155 offset:960                           // 00000000D29C: D86C03C0 1300009B
	s_waitcnt lgkmcnt(0)                                       // 00000000D2A4: BF8CC07F
	s_barrier                                                  // 00000000D2A8: BF8A0000
	v_max3_f32 v151, |v4|, |v5|, v151                          // 00000000D2AC: D1D30397 065E0B04
	v_max3_f32 v151, |v6|, |v7|, v151                          // 00000000D2B4: D1D30397 065E0F06
	v_max3_f32 v151, |v8|, |v9|, v151                          // 00000000D2BC: D1D30397 065E1308
	v_max3_f32 v151, |v10|, |v11|, v151                        // 00000000D2C4: D1D30397 065E170A
	v_max3_f32 v151, |v12|, |v13|, v151                        // 00000000D2CC: D1D30397 065E1B0C
	v_max3_f32 v151, |v14|, |v15|, v151                        // 00000000D2D4: D1D30397 065E1F0E
	v_max3_f32 v151, |v16|, |v17|, v151                        // 00000000D2DC: D1D30397 065E2310
	v_max3_f32 v151, |v18|, |v19|, v151                        // 00000000D2E4: D1D30397 065E2712
	v_rcp_f32_e32 v151, v151                                   // 00000000D2EC: 7F2E4597
	v_mov_b32_e32 v4, 0x43700000                               // 00000000D2F0: 7E0802FF 43700000
	v_mul_f32_e32 v151, v4, v151                               // 00000000D2F8: 0B2F2F04
	v_mov_b32_e32 v4, v151                                     // 00000000D2FC: 7E080397
	v_mov_b32_e32 v5, v4                                       // 00000000D300: 7E0A0304
	v_pk_mul_f32 v[112:113], v[4:5], v[112:113]                // 00000000D304: D3B14070 1802E104
	v_pk_mul_f32 v[114:115], v[4:5], v[114:115]                // 00000000D30C: D3B14072 1802E504
	v_cvt_pk_fp8_f32 v112, v112, v113                          // 00000000D314: D2A20070 0002E370
	v_cvt_pk_fp8_f32 v112, v114, v115 op_sel:[0,0,1]           // 00000000D31C: D2A24070 0002E772
	v_pk_mul_f32 v[132:133], v[4:5], v[132:133]                // 00000000D324: D3B14084 18030904
	v_pk_mul_f32 v[134:135], v[4:5], v[134:135]                // 00000000D32C: D3B14086 18030D04
	v_cvt_pk_fp8_f32 v132, v132, v133                          // 00000000D334: D2A20084 00030B84
	v_cvt_pk_fp8_f32 v132, v134, v135 op_sel:[0,0,1]           // 00000000D33C: D2A24084 00030F86
	v_rcp_f32_e32 v151, v151                                   // 00000000D344: 7F2E4597
	v_mov_b32_e32 v147, 0x358637bd                             // 00000000D348: 7F2602FF 358637BD
	v_max3_f32 v147, |v76|, |v77|, v147                        // 00000000D350: D1D30393 064E9B4C
	v_max3_f32 v147, |v78|, |v79|, v147                        // 00000000D358: D1D30393 064E9F4E
	v_max3_f32 v147, |v96|, |v97|, v147                        // 00000000D360: D1D30393 064EC360
	v_max3_f32 v147, |v98|, |v99|, v147                        // 00000000D368: D1D30393 064EC762
	ds_write_b32 v154, v147                                    // 00000000D370: D81A0000 0000939A
	s_waitcnt lgkmcnt(0)                                       // 00000000D378: BF8CC07F
	s_barrier                                                  // 00000000D37C: BF8A0000
	ds_read_b32 v4, v155                                       // 00000000D380: D86C0000 0400009B
	ds_read_b32 v5, v155 offset:64                             // 00000000D388: D86C0040 0500009B
	ds_read_b32 v6, v155 offset:128                            // 00000000D390: D86C0080 0600009B
	ds_read_b32 v7, v155 offset:192                            // 00000000D398: D86C00C0 0700009B
	ds_read_b32 v8, v155 offset:256                            // 00000000D3A0: D86C0100 0800009B
	ds_read_b32 v9, v155 offset:320                            // 00000000D3A8: D86C0140 0900009B
	ds_read_b32 v10, v155 offset:384                           // 00000000D3B0: D86C0180 0A00009B
	ds_read_b32 v11, v155 offset:448                           // 00000000D3B8: D86C01C0 0B00009B
	ds_read_b32 v12, v155 offset:512                           // 00000000D3C0: D86C0200 0C00009B
	ds_read_b32 v13, v155 offset:576                           // 00000000D3C8: D86C0240 0D00009B
	ds_read_b32 v14, v155 offset:640                           // 00000000D3D0: D86C0280 0E00009B
	ds_read_b32 v15, v155 offset:704                           // 00000000D3D8: D86C02C0 0F00009B
	ds_read_b32 v16, v155 offset:768                           // 00000000D3E0: D86C0300 1000009B
	ds_read_b32 v17, v155 offset:832                           // 00000000D3E8: D86C0340 1100009B
	ds_read_b32 v18, v155 offset:896                           // 00000000D3F0: D86C0380 1200009B
	ds_read_b32 v19, v155 offset:960                           // 00000000D3F8: D86C03C0 1300009B
	s_waitcnt lgkmcnt(0)                                       // 00000000D400: BF8CC07F
	s_barrier                                                  // 00000000D404: BF8A0000
	v_max3_f32 v147, |v4|, |v5|, v147                          // 00000000D408: D1D30393 064E0B04
	v_max3_f32 v147, |v6|, |v7|, v147                          // 00000000D410: D1D30393 064E0F06
	v_max3_f32 v147, |v8|, |v9|, v147                          // 00000000D418: D1D30393 064E1308
	v_max3_f32 v147, |v10|, |v11|, v147                        // 00000000D420: D1D30393 064E170A
	v_max3_f32 v147, |v12|, |v13|, v147                        // 00000000D428: D1D30393 064E1B0C
	v_max3_f32 v147, |v14|, |v15|, v147                        // 00000000D430: D1D30393 064E1F0E
	v_max3_f32 v147, |v16|, |v17|, v147                        // 00000000D438: D1D30393 064E2310
	v_max3_f32 v147, |v18|, |v19|, v147                        // 00000000D440: D1D30393 064E2712
	v_rcp_f32_e32 v147, v147                                   // 00000000D448: 7F264593
	v_mov_b32_e32 v4, 0x43700000                               // 00000000D44C: 7E0802FF 43700000
	v_mul_f32_e32 v147, v4, v147                               // 00000000D454: 0B272704
	v_mov_b32_e32 v4, v147                                     // 00000000D458: 7E080393
	v_mov_b32_e32 v5, v4                                       // 00000000D45C: 7E0A0304
	v_pk_mul_f32 v[76:77], v[4:5], v[76:77]                    // 00000000D460: D3B1404C 18029904
	v_pk_mul_f32 v[78:79], v[4:5], v[78:79]                    // 00000000D468: D3B1404E 18029D04
	v_cvt_pk_fp8_f32 v76, v76, v77                             // 00000000D470: D2A2004C 00029B4C
	v_cvt_pk_fp8_f32 v76, v78, v79 op_sel:[0,0,1]              // 00000000D478: D2A2404C 00029F4E
	v_pk_mul_f32 v[96:97], v[4:5], v[96:97]                    // 00000000D480: D3B14060 1802C104
	v_pk_mul_f32 v[98:99], v[4:5], v[98:99]                    // 00000000D488: D3B14062 1802C504
	v_cvt_pk_fp8_f32 v96, v96, v97                             // 00000000D490: D2A20060 0002C360
	v_cvt_pk_fp8_f32 v96, v98, v99 op_sel:[0,0,1]              // 00000000D498: D2A24060 0002C762
	v_rcp_f32_e32 v147, v147                                   // 00000000D4A0: 7F264593
	v_mov_b32_e32 v152, 0x358637bd                             // 00000000D4A4: 7F3002FF 358637BD
	v_max3_f32 v152, |v116|, |v117|, v152                      // 00000000D4AC: D1D30398 0662EB74
	v_max3_f32 v152, |v118|, |v119|, v152                      // 00000000D4B4: D1D30398 0662EF76
	v_max3_f32 v152, |v136|, |v137|, v152                      // 00000000D4BC: D1D30398 06631388
	v_max3_f32 v152, |v138|, |v139|, v152                      // 00000000D4C4: D1D30398 0663178A
	ds_write_b32 v154, v152                                    // 00000000D4CC: D81A0000 0000989A
	s_waitcnt lgkmcnt(0)                                       // 00000000D4D4: BF8CC07F
	s_barrier                                                  // 00000000D4D8: BF8A0000
	ds_read_b32 v4, v155                                       // 00000000D4DC: D86C0000 0400009B
	ds_read_b32 v5, v155 offset:64                             // 00000000D4E4: D86C0040 0500009B
	ds_read_b32 v6, v155 offset:128                            // 00000000D4EC: D86C0080 0600009B
	ds_read_b32 v7, v155 offset:192                            // 00000000D4F4: D86C00C0 0700009B
	ds_read_b32 v8, v155 offset:256                            // 00000000D4FC: D86C0100 0800009B
	ds_read_b32 v9, v155 offset:320                            // 00000000D504: D86C0140 0900009B
	ds_read_b32 v10, v155 offset:384                           // 00000000D50C: D86C0180 0A00009B
	ds_read_b32 v11, v155 offset:448                           // 00000000D514: D86C01C0 0B00009B
	ds_read_b32 v12, v155 offset:512                           // 00000000D51C: D86C0200 0C00009B
	ds_read_b32 v13, v155 offset:576                           // 00000000D524: D86C0240 0D00009B
	ds_read_b32 v14, v155 offset:640                           // 00000000D52C: D86C0280 0E00009B
	ds_read_b32 v15, v155 offset:704                           // 00000000D534: D86C02C0 0F00009B
	ds_read_b32 v16, v155 offset:768                           // 00000000D53C: D86C0300 1000009B
	ds_read_b32 v17, v155 offset:832                           // 00000000D544: D86C0340 1100009B
	ds_read_b32 v18, v155 offset:896                           // 00000000D54C: D86C0380 1200009B
	ds_read_b32 v19, v155 offset:960                           // 00000000D554: D86C03C0 1300009B
	s_waitcnt lgkmcnt(0)                                       // 00000000D55C: BF8CC07F
	s_barrier                                                  // 00000000D560: BF8A0000
	v_max3_f32 v152, |v4|, |v5|, v152                          // 00000000D564: D1D30398 06620B04
	v_max3_f32 v152, |v6|, |v7|, v152                          // 00000000D56C: D1D30398 06620F06
	v_max3_f32 v152, |v8|, |v9|, v152                          // 00000000D574: D1D30398 06621308
	v_max3_f32 v152, |v10|, |v11|, v152                        // 00000000D57C: D1D30398 0662170A
	v_max3_f32 v152, |v12|, |v13|, v152                        // 00000000D584: D1D30398 06621B0C
	v_max3_f32 v152, |v14|, |v15|, v152                        // 00000000D58C: D1D30398 06621F0E
	v_max3_f32 v152, |v16|, |v17|, v152                        // 00000000D594: D1D30398 06622310
	v_max3_f32 v152, |v18|, |v19|, v152                        // 00000000D59C: D1D30398 06622712
	v_rcp_f32_e32 v152, v152                                   // 00000000D5A4: 7F304598
	v_mov_b32_e32 v4, 0x43700000                               // 00000000D5A8: 7E0802FF 43700000
	v_mul_f32_e32 v152, v4, v152                               // 00000000D5B0: 0B313104
	v_mov_b32_e32 v4, v152                                     // 00000000D5B4: 7E080398
	v_mov_b32_e32 v5, v4                                       // 00000000D5B8: 7E0A0304
	v_pk_mul_f32 v[116:117], v[4:5], v[116:117]                // 00000000D5BC: D3B14074 1802E904
	v_pk_mul_f32 v[118:119], v[4:5], v[118:119]                // 00000000D5C4: D3B14076 1802ED04
	v_cvt_pk_fp8_f32 v116, v116, v117                          // 00000000D5CC: D2A20074 0002EB74
	v_cvt_pk_fp8_f32 v116, v118, v119 op_sel:[0,0,1]           // 00000000D5D4: D2A24074 0002EF76
	v_pk_mul_f32 v[136:137], v[4:5], v[136:137]                // 00000000D5DC: D3B14088 18031104
	v_pk_mul_f32 v[138:139], v[4:5], v[138:139]                // 00000000D5E4: D3B1408A 18031504
	v_cvt_pk_fp8_f32 v136, v136, v137                          // 00000000D5EC: D2A20088 00031388
	v_cvt_pk_fp8_f32 v136, v138, v139 op_sel:[0,0,1]           // 00000000D5F4: D2A24088 0003178A
	v_rcp_f32_e32 v152, v152                                   // 00000000D5FC: 7F304598
	v_mov_b32_e32 v148, 0x358637bd                             // 00000000D600: 7F2802FF 358637BD
	v_max3_f32 v148, |v80|, |v81|, v148                        // 00000000D608: D1D30394 0652A350
	v_max3_f32 v148, |v82|, |v83|, v148                        // 00000000D610: D1D30394 0652A752
	v_max3_f32 v148, |v100|, |v101|, v148                      // 00000000D618: D1D30394 0652CB64
	v_max3_f32 v148, |v102|, |v103|, v148                      // 00000000D620: D1D30394 0652CF66
	ds_write_b32 v154, v148                                    // 00000000D628: D81A0000 0000949A
	s_waitcnt lgkmcnt(0)                                       // 00000000D630: BF8CC07F
	s_barrier                                                  // 00000000D634: BF8A0000
	ds_read_b32 v4, v155                                       // 00000000D638: D86C0000 0400009B
	ds_read_b32 v5, v155 offset:64                             // 00000000D640: D86C0040 0500009B
	ds_read_b32 v6, v155 offset:128                            // 00000000D648: D86C0080 0600009B
	ds_read_b32 v7, v155 offset:192                            // 00000000D650: D86C00C0 0700009B
	ds_read_b32 v8, v155 offset:256                            // 00000000D658: D86C0100 0800009B
	ds_read_b32 v9, v155 offset:320                            // 00000000D660: D86C0140 0900009B
	ds_read_b32 v10, v155 offset:384                           // 00000000D668: D86C0180 0A00009B
	ds_read_b32 v11, v155 offset:448                           // 00000000D670: D86C01C0 0B00009B
	ds_read_b32 v12, v155 offset:512                           // 00000000D678: D86C0200 0C00009B
	ds_read_b32 v13, v155 offset:576                           // 00000000D680: D86C0240 0D00009B
	ds_read_b32 v14, v155 offset:640                           // 00000000D688: D86C0280 0E00009B
	ds_read_b32 v15, v155 offset:704                           // 00000000D690: D86C02C0 0F00009B
	ds_read_b32 v16, v155 offset:768                           // 00000000D698: D86C0300 1000009B
	ds_read_b32 v17, v155 offset:832                           // 00000000D6A0: D86C0340 1100009B
	ds_read_b32 v18, v155 offset:896                           // 00000000D6A8: D86C0380 1200009B
	ds_read_b32 v19, v155 offset:960                           // 00000000D6B0: D86C03C0 1300009B
	s_waitcnt lgkmcnt(0)                                       // 00000000D6B8: BF8CC07F
	s_barrier                                                  // 00000000D6BC: BF8A0000
	v_max3_f32 v148, |v4|, |v5|, v148                          // 00000000D6C0: D1D30394 06520B04
	v_max3_f32 v148, |v6|, |v7|, v148                          // 00000000D6C8: D1D30394 06520F06
	v_max3_f32 v148, |v8|, |v9|, v148                          // 00000000D6D0: D1D30394 06521308
	v_max3_f32 v148, |v10|, |v11|, v148                        // 00000000D6D8: D1D30394 0652170A
	v_max3_f32 v148, |v12|, |v13|, v148                        // 00000000D6E0: D1D30394 06521B0C
	v_max3_f32 v148, |v14|, |v15|, v148                        // 00000000D6E8: D1D30394 06521F0E
	v_max3_f32 v148, |v16|, |v17|, v148                        // 00000000D6F0: D1D30394 06522310
	v_max3_f32 v148, |v18|, |v19|, v148                        // 00000000D6F8: D1D30394 06522712
	v_rcp_f32_e32 v148, v148                                   // 00000000D700: 7F284594
	v_mov_b32_e32 v4, 0x43700000                               // 00000000D704: 7E0802FF 43700000
	v_mul_f32_e32 v148, v4, v148                               // 00000000D70C: 0B292904
	v_mov_b32_e32 v4, v148                                     // 00000000D710: 7E080394
	v_mov_b32_e32 v5, v4                                       // 00000000D714: 7E0A0304
	v_pk_mul_f32 v[80:81], v[4:5], v[80:81]                    // 00000000D718: D3B14050 1802A104
	v_pk_mul_f32 v[82:83], v[4:5], v[82:83]                    // 00000000D720: D3B14052 1802A504
	v_cvt_pk_fp8_f32 v80, v80, v81                             // 00000000D728: D2A20050 0002A350
	v_cvt_pk_fp8_f32 v80, v82, v83 op_sel:[0,0,1]              // 00000000D730: D2A24050 0002A752
	v_pk_mul_f32 v[100:101], v[4:5], v[100:101]                // 00000000D738: D3B14064 1802C904
	v_pk_mul_f32 v[102:103], v[4:5], v[102:103]                // 00000000D740: D3B14066 1802CD04
	v_cvt_pk_fp8_f32 v100, v100, v101                          // 00000000D748: D2A20064 0002CB64
	v_cvt_pk_fp8_f32 v100, v102, v103 op_sel:[0,0,1]           // 00000000D750: D2A24064 0002CF66
	v_rcp_f32_e32 v148, v148                                   // 00000000D758: 7F284594
	v_mov_b32_e32 v153, 0x358637bd                             // 00000000D75C: 7F3202FF 358637BD
	v_max3_f32 v153, |v120|, |v121|, v153                      // 00000000D764: D1D30399 0666F378
	v_max3_f32 v153, |v122|, |v123|, v153                      // 00000000D76C: D1D30399 0666F77A
	v_max3_f32 v153, |v140|, |v141|, v153                      // 00000000D774: D1D30399 06671B8C
	v_max3_f32 v153, |v142|, |v143|, v153                      // 00000000D77C: D1D30399 06671F8E
	ds_write_b32 v154, v153                                    // 00000000D784: D81A0000 0000999A
	s_waitcnt lgkmcnt(0)                                       // 00000000D78C: BF8CC07F
	s_barrier                                                  // 00000000D790: BF8A0000
	ds_read_b32 v4, v155                                       // 00000000D794: D86C0000 0400009B
	ds_read_b32 v5, v155 offset:64                             // 00000000D79C: D86C0040 0500009B
	ds_read_b32 v6, v155 offset:128                            // 00000000D7A4: D86C0080 0600009B
	ds_read_b32 v7, v155 offset:192                            // 00000000D7AC: D86C00C0 0700009B
	ds_read_b32 v8, v155 offset:256                            // 00000000D7B4: D86C0100 0800009B
	ds_read_b32 v9, v155 offset:320                            // 00000000D7BC: D86C0140 0900009B
	ds_read_b32 v10, v155 offset:384                           // 00000000D7C4: D86C0180 0A00009B
	ds_read_b32 v11, v155 offset:448                           // 00000000D7CC: D86C01C0 0B00009B
	ds_read_b32 v12, v155 offset:512                           // 00000000D7D4: D86C0200 0C00009B
	ds_read_b32 v13, v155 offset:576                           // 00000000D7DC: D86C0240 0D00009B
	ds_read_b32 v14, v155 offset:640                           // 00000000D7E4: D86C0280 0E00009B
	ds_read_b32 v15, v155 offset:704                           // 00000000D7EC: D86C02C0 0F00009B
	ds_read_b32 v16, v155 offset:768                           // 00000000D7F4: D86C0300 1000009B
	ds_read_b32 v17, v155 offset:832                           // 00000000D7FC: D86C0340 1100009B
	ds_read_b32 v18, v155 offset:896                           // 00000000D804: D86C0380 1200009B
	ds_read_b32 v19, v155 offset:960                           // 00000000D80C: D86C03C0 1300009B
	s_waitcnt lgkmcnt(0)                                       // 00000000D814: BF8CC07F
	s_barrier                                                  // 00000000D818: BF8A0000
	v_max3_f32 v153, |v4|, |v5|, v153                          // 00000000D81C: D1D30399 06660B04
	v_max3_f32 v153, |v6|, |v7|, v153                          // 00000000D824: D1D30399 06660F06
	v_max3_f32 v153, |v8|, |v9|, v153                          // 00000000D82C: D1D30399 06661308
	v_max3_f32 v153, |v10|, |v11|, v153                        // 00000000D834: D1D30399 0666170A
	v_max3_f32 v153, |v12|, |v13|, v153                        // 00000000D83C: D1D30399 06661B0C
	v_max3_f32 v153, |v14|, |v15|, v153                        // 00000000D844: D1D30399 06661F0E
	v_max3_f32 v153, |v16|, |v17|, v153                        // 00000000D84C: D1D30399 06662310
	v_max3_f32 v153, |v18|, |v19|, v153                        // 00000000D854: D1D30399 06662712
	v_rcp_f32_e32 v153, v153                                   // 00000000D85C: 7F324599
	v_mov_b32_e32 v4, 0x43700000                               // 00000000D860: 7E0802FF 43700000
	v_mul_f32_e32 v153, v4, v153                               // 00000000D868: 0B333304
	v_mov_b32_e32 v4, v153                                     // 00000000D86C: 7E080399
	v_mov_b32_e32 v5, v4                                       // 00000000D870: 7E0A0304
	v_pk_mul_f32 v[120:121], v[4:5], v[120:121]                // 00000000D874: D3B14078 1802F104
	v_pk_mul_f32 v[122:123], v[4:5], v[122:123]                // 00000000D87C: D3B1407A 1802F504
	v_cvt_pk_fp8_f32 v120, v120, v121                          // 00000000D884: D2A20078 0002F378
	v_cvt_pk_fp8_f32 v120, v122, v123 op_sel:[0,0,1]           // 00000000D88C: D2A24078 0002F77A
	v_pk_mul_f32 v[140:141], v[4:5], v[140:141]                // 00000000D894: D3B1408C 18031904
	v_pk_mul_f32 v[142:143], v[4:5], v[142:143]                // 00000000D89C: D3B1408E 18031D04
	v_cvt_pk_fp8_f32 v140, v140, v141                          // 00000000D8A4: D2A2008C 00031B8C
	v_cvt_pk_fp8_f32 v140, v142, v143 op_sel:[0,0,1]           // 00000000D8AC: D2A2408C 00031F8E
	v_rcp_f32_e32 v153, v153                                   // 00000000D8B4: 7F324599
	v_lshrrev_b32_e32 v4, 5, v0                                // 00000000D8B8: 20080085
	v_mul_lo_u32 v20, 34, v4                                   // 00000000D8BC: D2850014 000208A2
	v_and_b32_e32 v4, 31, v0                                   // 00000000D8C4: 2608009F
	v_lshrrev_b32_e32 v5, 4, v4                                // 00000000D8C8: 200A0884
	v_add_u32_e32 v20, v5, v20                                 // 00000000D8CC: 68282905
	v_and_b32_e32 v4, 15, v0                                   // 00000000D8D0: 2608008F
	v_mul_lo_u32 v5, 2, v4                                     // 00000000D8D4: D2850005 00020882
	v_add_u32_e32 v20, v5, v20                                 // 00000000D8DC: 68282905
	s_mul_i32 s60, s7, 0x44                                    // 00000000D8E0: 923CFF07 00000044
	v_add_u32_e32 v20, s60, v20                                // 00000000D8E8: 6828283C
	v_lshlrev_b32_e32 v20, 2, v20                              // 00000000D8EC: 24282882
	ds_write_b32 v20, v64                                      // 00000000D8F0: D81A0000 00004014
	ds_write_b32 v20, v68 offset:4352                          // 00000000D8F8: D81A1100 00004414
	ds_write_b32 v20, v72 offset:8704                          // 00000000D900: D81A2200 00004814
	ds_write_b32 v20, v76 offset:13056                         // 00000000D908: D81A3300 00004C14
	ds_write_b32 v20, v80 offset:17408                         // 00000000D910: D81A4400 00005014
	ds_write_b32 v20, v84 offset:1088                          // 00000000D918: D81A0440 00005414
	ds_write_b32 v20, v88 offset:5440                          // 00000000D920: D81A1540 00005814
	ds_write_b32 v20, v92 offset:9792                          // 00000000D928: D81A2640 00005C14
	ds_write_b32 v20, v96 offset:14144                         // 00000000D930: D81A3740 00006014
	ds_write_b32 v20, v100 offset:18496                        // 00000000D938: D81A4840 00006414
	ds_write_b32 v20, v104 offset:2176                         // 00000000D940: D81A0880 00006814
	ds_write_b32 v20, v108 offset:6528                         // 00000000D948: D81A1980 00006C14
	ds_write_b32 v20, v112 offset:10880                        // 00000000D950: D81A2A80 00007014
	ds_write_b32 v20, v116 offset:15232                        // 00000000D958: D81A3B80 00007414
	ds_write_b32 v20, v120 offset:19584                        // 00000000D960: D81A4C80 00007814
	ds_write_b32 v20, v124 offset:3264                         // 00000000D968: D81A0CC0 00007C14
	ds_write_b32 v20, v128 offset:7616                         // 00000000D970: D81A1DC0 00008014
	ds_write_b32 v20, v132 offset:11968                        // 00000000D978: D81A2EC0 00008414
	ds_write_b32 v20, v136 offset:16320                        // 00000000D980: D81A3FC0 00008814
	ds_write_b32 v20, v140 offset:20672                        // 00000000D988: D81A50C0 00008C14
	v_lshrrev_b32_e32 v4, 5, v0                                // 00000000D990: 20080085
	v_xor_b32_e32 v5, 1, v4                                    // 00000000D994: 2A0A0881
	s_mul_i32 s60, s65, 1                                      // 00000000D998: 923C8141
	s_cmp_eq_u32 s88, 0                                        // 00000000D99C: BF068058
	s_cselect_b32 s61, 1, 8                                    // 00000000D9A0: 853D8881
	s_mul_i32 s60, s61, s60                                    // 00000000D9A4: 923C3C3D
	v_readlane_b32 s82, v3, 0                                  // 00000000D9A8: D2890052 00010103
	s_lshr_b32 s61, s82, 24                                    // 00000000D9B0: 8F3D9852
	s_and_b32 s82, s82, 0xffffff                               // 00000000D9B4: 8652FF52 00FFFFFF
	s_mul_i32 s82, s82, s71                                    // 00000000D9BC: 92524752
	s_mul_i32 s61, s60, s61                                    // 00000000D9C0: 923D3D3C
	s_add_u32 s82, s82, s61                                    // 00000000D9C4: 80523D52
	v_mul_lo_u32 v6, v5, s82                                   // 00000000D9C8: D2850006 0000A505
	v_readlane_b32 s82, v3, 1                                  // 00000000D9D0: D2890052 00010303
	s_lshr_b32 s61, s82, 24                                    // 00000000D9D8: 8F3D9852
	s_and_b32 s82, s82, 0xffffff                               // 00000000D9DC: 8652FF52 00FFFFFF
	s_mul_i32 s82, s82, s71                                    // 00000000D9E4: 92524752
	s_mul_i32 s61, s60, s61                                    // 00000000D9E8: 923D3D3C
	s_add_u32 s82, s82, s61                                    // 00000000D9EC: 80523D52
	v_mul_lo_u32 v7, v4, s82                                   // 00000000D9F0: D2850007 0000A504
	v_add_u32_e32 v48, v6, v7                                  // 00000000D9F8: 68600F06
	v_readlane_b32 s82, v3, 2                                  // 00000000D9FC: D2890052 00010503
	s_lshr_b32 s61, s82, 24                                    // 00000000DA04: 8F3D9852
	s_and_b32 s82, s82, 0xffffff                               // 00000000DA08: 8652FF52 00FFFFFF
	s_mul_i32 s82, s82, s71                                    // 00000000DA10: 92524752
	s_mul_i32 s61, s60, s61                                    // 00000000DA14: 923D3D3C
	s_add_u32 s82, s82, s61                                    // 00000000DA18: 80523D52
	v_mul_lo_u32 v6, v5, s82                                   // 00000000DA1C: D2850006 0000A505
	v_readlane_b32 s82, v3, 3                                  // 00000000DA24: D2890052 00010703
	s_lshr_b32 s61, s82, 24                                    // 00000000DA2C: 8F3D9852
	s_and_b32 s82, s82, 0xffffff                               // 00000000DA30: 8652FF52 00FFFFFF
	s_mul_i32 s82, s82, s71                                    // 00000000DA38: 92524752
	s_mul_i32 s61, s60, s61                                    // 00000000DA3C: 923D3D3C
	s_add_u32 s82, s82, s61                                    // 00000000DA40: 80523D52
	v_mul_lo_u32 v7, v4, s82                                   // 00000000DA44: D2850007 0000A504
	v_add_u32_e32 v49, v6, v7                                  // 00000000DA4C: 68620F06
	v_readlane_b32 s82, v3, 4                                  // 00000000DA50: D2890052 00010903
	s_lshr_b32 s61, s82, 24                                    // 00000000DA58: 8F3D9852
	s_and_b32 s82, s82, 0xffffff                               // 00000000DA5C: 8652FF52 00FFFFFF
	s_mul_i32 s82, s82, s71                                    // 00000000DA64: 92524752
	s_mul_i32 s61, s60, s61                                    // 00000000DA68: 923D3D3C
	s_add_u32 s82, s82, s61                                    // 00000000DA6C: 80523D52
	v_mul_lo_u32 v6, v5, s82                                   // 00000000DA70: D2850006 0000A505
	v_readlane_b32 s82, v3, 5                                  // 00000000DA78: D2890052 00010B03
	s_lshr_b32 s61, s82, 24                                    // 00000000DA80: 8F3D9852
	s_and_b32 s82, s82, 0xffffff                               // 00000000DA84: 8652FF52 00FFFFFF
	s_mul_i32 s82, s82, s71                                    // 00000000DA8C: 92524752
	s_mul_i32 s61, s60, s61                                    // 00000000DA90: 923D3D3C
	s_add_u32 s82, s82, s61                                    // 00000000DA94: 80523D52
	v_mul_lo_u32 v7, v4, s82                                   // 00000000DA98: D2850007 0000A504
	v_add_u32_e32 v50, v6, v7                                  // 00000000DAA0: 68640F06
	v_readlane_b32 s82, v3, 6                                  // 00000000DAA4: D2890052 00010D03
	s_lshr_b32 s61, s82, 24                                    // 00000000DAAC: 8F3D9852
	s_and_b32 s82, s82, 0xffffff                               // 00000000DAB0: 8652FF52 00FFFFFF
	s_mul_i32 s82, s82, s71                                    // 00000000DAB8: 92524752
	s_mul_i32 s61, s60, s61                                    // 00000000DABC: 923D3D3C
	s_add_u32 s82, s82, s61                                    // 00000000DAC0: 80523D52
	v_mul_lo_u32 v6, v5, s82                                   // 00000000DAC4: D2850006 0000A505
	v_readlane_b32 s82, v3, 7                                  // 00000000DACC: D2890052 00010F03
	s_lshr_b32 s61, s82, 24                                    // 00000000DAD4: 8F3D9852
	s_and_b32 s82, s82, 0xffffff                               // 00000000DAD8: 8652FF52 00FFFFFF
	s_mul_i32 s82, s82, s71                                    // 00000000DAE0: 92524752
	s_mul_i32 s61, s60, s61                                    // 00000000DAE4: 923D3D3C
	s_add_u32 s82, s82, s61                                    // 00000000DAE8: 80523D52
	v_mul_lo_u32 v7, v4, s82                                   // 00000000DAEC: D2850007 0000A504
	v_add_u32_e32 v51, v6, v7                                  // 00000000DAF4: 68660F06
	v_readlane_b32 s82, v3, 8                                  // 00000000DAF8: D2890052 00011103
	s_lshr_b32 s61, s82, 24                                    // 00000000DB00: 8F3D9852
	s_and_b32 s82, s82, 0xffffff                               // 00000000DB04: 8652FF52 00FFFFFF
	s_mul_i32 s82, s82, s71                                    // 00000000DB0C: 92524752
	s_mul_i32 s61, s60, s61                                    // 00000000DB10: 923D3D3C
	s_add_u32 s82, s82, s61                                    // 00000000DB14: 80523D52
	v_mul_lo_u32 v6, v5, s82                                   // 00000000DB18: D2850006 0000A505
	v_readlane_b32 s82, v3, 9                                  // 00000000DB20: D2890052 00011303
	s_lshr_b32 s61, s82, 24                                    // 00000000DB28: 8F3D9852
	s_and_b32 s82, s82, 0xffffff                               // 00000000DB2C: 8652FF52 00FFFFFF
	s_mul_i32 s82, s82, s71                                    // 00000000DB34: 92524752
	s_mul_i32 s61, s60, s61                                    // 00000000DB38: 923D3D3C
	s_add_u32 s82, s82, s61                                    // 00000000DB3C: 80523D52
	v_mul_lo_u32 v7, v4, s82                                   // 00000000DB40: D2850007 0000A504
	v_add_u32_e32 v52, v6, v7                                  // 00000000DB48: 68680F06
	v_readlane_b32 s82, v3, 10                                 // 00000000DB4C: D2890052 00011503
	s_lshr_b32 s61, s82, 24                                    // 00000000DB54: 8F3D9852
	s_and_b32 s82, s82, 0xffffff                               // 00000000DB58: 8652FF52 00FFFFFF
	s_mul_i32 s82, s82, s71                                    // 00000000DB60: 92524752
	s_mul_i32 s61, s60, s61                                    // 00000000DB64: 923D3D3C
	s_add_u32 s82, s82, s61                                    // 00000000DB68: 80523D52
	v_mul_lo_u32 v6, v5, s82                                   // 00000000DB6C: D2850006 0000A505
	v_readlane_b32 s82, v3, 11                                 // 00000000DB74: D2890052 00011703
	s_lshr_b32 s61, s82, 24                                    // 00000000DB7C: 8F3D9852
	s_and_b32 s82, s82, 0xffffff                               // 00000000DB80: 8652FF52 00FFFFFF
	s_mul_i32 s82, s82, s71                                    // 00000000DB88: 92524752
	s_mul_i32 s61, s60, s61                                    // 00000000DB8C: 923D3D3C
	s_add_u32 s82, s82, s61                                    // 00000000DB90: 80523D52
	v_mul_lo_u32 v7, v4, s82                                   // 00000000DB94: D2850007 0000A504
	v_add_u32_e32 v53, v6, v7                                  // 00000000DB9C: 686A0F06
	v_readlane_b32 s82, v3, 12                                 // 00000000DBA0: D2890052 00011903
	s_lshr_b32 s61, s82, 24                                    // 00000000DBA8: 8F3D9852
	s_and_b32 s82, s82, 0xffffff                               // 00000000DBAC: 8652FF52 00FFFFFF
	s_mul_i32 s82, s82, s71                                    // 00000000DBB4: 92524752
	s_mul_i32 s61, s60, s61                                    // 00000000DBB8: 923D3D3C
	s_add_u32 s82, s82, s61                                    // 00000000DBBC: 80523D52
	v_mul_lo_u32 v6, v5, s82                                   // 00000000DBC0: D2850006 0000A505
	v_readlane_b32 s82, v3, 13                                 // 00000000DBC8: D2890052 00011B03
	s_lshr_b32 s61, s82, 24                                    // 00000000DBD0: 8F3D9852
	s_and_b32 s82, s82, 0xffffff                               // 00000000DBD4: 8652FF52 00FFFFFF
	s_mul_i32 s82, s82, s71                                    // 00000000DBDC: 92524752
	s_mul_i32 s61, s60, s61                                    // 00000000DBE0: 923D3D3C
	s_add_u32 s82, s82, s61                                    // 00000000DBE4: 80523D52
	v_mul_lo_u32 v7, v4, s82                                   // 00000000DBE8: D2850007 0000A504
	v_add_u32_e32 v54, v6, v7                                  // 00000000DBF0: 686C0F06
	v_readlane_b32 s82, v3, 14                                 // 00000000DBF4: D2890052 00011D03
	s_lshr_b32 s61, s82, 24                                    // 00000000DBFC: 8F3D9852
	s_and_b32 s82, s82, 0xffffff                               // 00000000DC00: 8652FF52 00FFFFFF
	s_mul_i32 s82, s82, s71                                    // 00000000DC08: 92524752
	s_mul_i32 s61, s60, s61                                    // 00000000DC0C: 923D3D3C
	s_add_u32 s82, s82, s61                                    // 00000000DC10: 80523D52
	v_mul_lo_u32 v6, v5, s82                                   // 00000000DC14: D2850006 0000A505
	v_readlane_b32 s82, v3, 15                                 // 00000000DC1C: D2890052 00011F03
	s_lshr_b32 s61, s82, 24                                    // 00000000DC24: 8F3D9852
	s_and_b32 s82, s82, 0xffffff                               // 00000000DC28: 8652FF52 00FFFFFF
	s_mul_i32 s82, s82, s71                                    // 00000000DC30: 92524752
	s_mul_i32 s61, s60, s61                                    // 00000000DC34: 923D3D3C
	s_add_u32 s82, s82, s61                                    // 00000000DC38: 80523D52
	v_mul_lo_u32 v7, v4, s82                                   // 00000000DC3C: D2850007 0000A504
	v_add_u32_e32 v55, v6, v7                                  // 00000000DC44: 686E0F06
	v_readlane_b32 s82, v3, 16                                 // 00000000DC48: D2890052 00012103
	s_lshr_b32 s61, s82, 24                                    // 00000000DC50: 8F3D9852
	s_and_b32 s82, s82, 0xffffff                               // 00000000DC54: 8652FF52 00FFFFFF
	s_mul_i32 s82, s82, s71                                    // 00000000DC5C: 92524752
	s_mul_i32 s61, s60, s61                                    // 00000000DC60: 923D3D3C
	s_add_u32 s82, s82, s61                                    // 00000000DC64: 80523D52
	v_mul_lo_u32 v6, v5, s82                                   // 00000000DC68: D2850006 0000A505
	v_readlane_b32 s82, v3, 17                                 // 00000000DC70: D2890052 00012303
	s_lshr_b32 s61, s82, 24                                    // 00000000DC78: 8F3D9852
	s_and_b32 s82, s82, 0xffffff                               // 00000000DC7C: 8652FF52 00FFFFFF
	s_mul_i32 s82, s82, s71                                    // 00000000DC84: 92524752
	s_mul_i32 s61, s60, s61                                    // 00000000DC88: 923D3D3C
	s_add_u32 s82, s82, s61                                    // 00000000DC8C: 80523D52
	v_mul_lo_u32 v7, v4, s82                                   // 00000000DC90: D2850007 0000A504
	v_add_u32_e32 v56, v6, v7                                  // 00000000DC98: 68700F06
	v_readlane_b32 s82, v3, 18                                 // 00000000DC9C: D2890052 00012503
	s_lshr_b32 s61, s82, 24                                    // 00000000DCA4: 8F3D9852
	s_and_b32 s82, s82, 0xffffff                               // 00000000DCA8: 8652FF52 00FFFFFF
	s_mul_i32 s82, s82, s71                                    // 00000000DCB0: 92524752
	s_mul_i32 s61, s60, s61                                    // 00000000DCB4: 923D3D3C
	s_add_u32 s82, s82, s61                                    // 00000000DCB8: 80523D52
	v_mul_lo_u32 v6, v5, s82                                   // 00000000DCBC: D2850006 0000A505
	v_readlane_b32 s82, v3, 19                                 // 00000000DCC4: D2890052 00012703
	s_lshr_b32 s61, s82, 24                                    // 00000000DCCC: 8F3D9852
	s_and_b32 s82, s82, 0xffffff                               // 00000000DCD0: 8652FF52 00FFFFFF
	s_mul_i32 s82, s82, s71                                    // 00000000DCD8: 92524752
	s_mul_i32 s61, s60, s61                                    // 00000000DCDC: 923D3D3C
	s_add_u32 s82, s82, s61                                    // 00000000DCE0: 80523D52
	v_mul_lo_u32 v7, v4, s82                                   // 00000000DCE4: D2850007 0000A504
	v_add_u32_e32 v57, v6, v7                                  // 00000000DCEC: 68720F06
	v_and_b32_e32 v4, 31, v0                                   // 00000000DCF0: 2608009F
	v_lshrrev_b32_e32 v4, 1, v4                                // 00000000DCF4: 20080881
	s_cmp_eq_u32 s88, 0                                        // 00000000DCF8: BF068058
	s_cselect_b32 s61, 2, 4                                    // 00000000DCFC: 853D8482
	v_mul_lo_u32 v4, v4, s61                                   // 00000000DD00: D2850004 00007B04
	v_and_b32_e64 v5, v0, 1                                    // 00000000DD08: D1130005 00010300
	v_add_u32_e32 v4, v4, v5                                   // 00000000DD10: 68080B04
	v_lshlrev_b32_e32 v4, 2, v4                                // 00000000DD14: 24080882
	v_add_u32_e32 v48, v48, v4                                 // 00000000DD18: 68600930
	v_add_u32_e32 v49, v49, v4                                 // 00000000DD1C: 68620931
	v_add_u32_e32 v50, v50, v4                                 // 00000000DD20: 68640932
	v_add_u32_e32 v51, v51, v4                                 // 00000000DD24: 68660933
	v_add_u32_e32 v52, v52, v4                                 // 00000000DD28: 68680934
	v_add_u32_e32 v53, v53, v4                                 // 00000000DD2C: 686A0935
	v_add_u32_e32 v54, v54, v4                                 // 00000000DD30: 686C0936
	v_add_u32_e32 v55, v55, v4                                 // 00000000DD34: 686E0937
	v_add_u32_e32 v56, v56, v4                                 // 00000000DD38: 68700938
	v_add_u32_e32 v57, v57, v4                                 // 00000000DD3C: 68720939
	s_waitcnt lgkmcnt(0)                                       // 00000000DD40: BF8CC07F
	s_barrier                                                  // 00000000DD44: BF8A0000
	ds_read_b32 v64, v21                                       // 00000000DD48: D86C0000 40000015
	ds_read_b32 v65, v21 offset:64                             // 00000000DD50: D86C0040 41000015
	ds_read_b32 v66, v21 offset:2176                           // 00000000DD58: D86C0880 42000015
	ds_read_b32 v67, v21 offset:2240                           // 00000000DD60: D86C08C0 43000015
	ds_read_b32 v68, v21 offset:4352                           // 00000000DD68: D86C1100 44000015
	ds_read_b32 v69, v21 offset:4416                           // 00000000DD70: D86C1140 45000015
	ds_read_b32 v70, v21 offset:6528                           // 00000000DD78: D86C1980 46000015
	ds_read_b32 v71, v21 offset:6592                           // 00000000DD80: D86C19C0 47000015
	ds_read_b32 v72, v21 offset:8704                           // 00000000DD88: D86C2200 48000015
	ds_read_b32 v73, v21 offset:8768                           // 00000000DD90: D86C2240 49000015
	ds_read_b32 v74, v21 offset:10880                          // 00000000DD98: D86C2A80 4A000015
	ds_read_b32 v75, v21 offset:10944                          // 00000000DDA0: D86C2AC0 4B000015
	ds_read_b32 v76, v21 offset:13056                          // 00000000DDA8: D86C3300 4C000015
	ds_read_b32 v77, v21 offset:13120                          // 00000000DDB0: D86C3340 4D000015
	ds_read_b32 v78, v21 offset:15232                          // 00000000DDB8: D86C3B80 4E000015
	ds_read_b32 v79, v21 offset:15296                          // 00000000DDC0: D86C3BC0 4F000015
	ds_read_b32 v80, v21 offset:17408                          // 00000000DDC8: D86C4400 50000015
	ds_read_b32 v81, v21 offset:17472                          // 00000000DDD0: D86C4440 51000015
	ds_read_b32 v82, v21 offset:19584                          // 00000000DDD8: D86C4C80 52000015
	ds_read_b32 v83, v21 offset:19648                          // 00000000DDE0: D86C4CC0 53000015
	s_waitcnt lgkmcnt(0)                                       // 00000000DDE8: BF8CC07F
	s_mov_b32 s36, -1                                          // 00000000DDEC: BEA400C1
	s_mov_b32 s37, -1                                          // 00000000DDF0: BEA500C1
	v_mov_b32_e32 v7, 0                                        // 00000000DDF4: 7E0E0280
	s_or_b32 s9, s9, 0x40000                                   // 00000000DDF8: 8709FF09 00040000
	s_mov_b64 exec, s[36:37]                                   // 00000000DE00: BEFE0124
	v_mov_b32_e32 v6, v48                                      // 00000000DE04: 7E0C0330
	s_mov_b64 s[60:61], 0                                      // 00000000DE08: BEBC0180
	v_readlane_b32 s82, v3, 0                                  // 00000000DE0C: D2890052 00010103
	s_and_b32 s82, s82, 0xffffff                               // 00000000DE14: 8652FF52 00FFFFFF
	s_cmp_lt_u32 s82, s66                                      // 00000000DE1C: BF0A4252
	s_cselect_b32 s20, s36, s60                                // 00000000DE20: 85143C24
	v_readlane_b32 s82, v3, 1                                  // 00000000DE24: D2890052 00010303
	s_and_b32 s82, s82, 0xffffff                               // 00000000DE2C: 8652FF52 00FFFFFF
	s_cmp_lt_u32 s82, s66                                      // 00000000DE34: BF0A4252
	s_cselect_b32 s21, s36, s60                                // 00000000DE38: 85153C24
	s_mov_b64 exec, s[20:21]                                   // 00000000DE3C: BEFE0114
	buffer_store_dword v64, v6, s[8:11], 0 offen               // 00000000DE40: E0701000 80024006
	buffer_store_dword v66, v6, s[8:11], 0 offen offset:128    // 00000000DE48: E0701080 80024206
	s_mov_b64 exec, s[36:37]                                   // 00000000DE50: BEFE0124
	v_mov_b32_e32 v6, v49                                      // 00000000DE54: 7E0C0331
	s_mov_b64 s[60:61], 0                                      // 00000000DE58: BEBC0180
	v_readlane_b32 s82, v3, 2                                  // 00000000DE5C: D2890052 00010503
	s_and_b32 s82, s82, 0xffffff                               // 00000000DE64: 8652FF52 00FFFFFF
	s_cmp_lt_u32 s82, s66                                      // 00000000DE6C: BF0A4252
	s_cselect_b32 s20, s36, s60                                // 00000000DE70: 85143C24
	v_readlane_b32 s82, v3, 3                                  // 00000000DE74: D2890052 00010703
	s_and_b32 s82, s82, 0xffffff                               // 00000000DE7C: 8652FF52 00FFFFFF
	s_cmp_lt_u32 s82, s66                                      // 00000000DE84: BF0A4252
	s_cselect_b32 s21, s36, s60                                // 00000000DE88: 85153C24
	s_mov_b64 exec, s[20:21]                                   // 00000000DE8C: BEFE0114
	buffer_store_dword v65, v6, s[8:11], 0 offen               // 00000000DE90: E0701000 80024106
	buffer_store_dword v67, v6, s[8:11], 0 offen offset:128    // 00000000DE98: E0701080 80024306
	s_mov_b64 exec, s[36:37]                                   // 00000000DEA0: BEFE0124
	v_mov_b32_e32 v6, v50                                      // 00000000DEA4: 7E0C0332
	s_mov_b64 s[60:61], 0                                      // 00000000DEA8: BEBC0180
	v_readlane_b32 s82, v3, 4                                  // 00000000DEAC: D2890052 00010903
	s_and_b32 s82, s82, 0xffffff                               // 00000000DEB4: 8652FF52 00FFFFFF
	s_cmp_lt_u32 s82, s66                                      // 00000000DEBC: BF0A4252
	s_cselect_b32 s20, s36, s60                                // 00000000DEC0: 85143C24
	v_readlane_b32 s82, v3, 5                                  // 00000000DEC4: D2890052 00010B03
	s_and_b32 s82, s82, 0xffffff                               // 00000000DECC: 8652FF52 00FFFFFF
	s_cmp_lt_u32 s82, s66                                      // 00000000DED4: BF0A4252
	s_cselect_b32 s21, s36, s60                                // 00000000DED8: 85153C24
	s_mov_b64 exec, s[20:21]                                   // 00000000DEDC: BEFE0114
	buffer_store_dword v68, v6, s[8:11], 0 offen               // 00000000DEE0: E0701000 80024406
	buffer_store_dword v70, v6, s[8:11], 0 offen offset:128    // 00000000DEE8: E0701080 80024606
	s_mov_b64 exec, s[36:37]                                   // 00000000DEF0: BEFE0124
	v_mov_b32_e32 v6, v51                                      // 00000000DEF4: 7E0C0333
	s_mov_b64 s[60:61], 0                                      // 00000000DEF8: BEBC0180
	v_readlane_b32 s82, v3, 6                                  // 00000000DEFC: D2890052 00010D03
	s_and_b32 s82, s82, 0xffffff                               // 00000000DF04: 8652FF52 00FFFFFF
	s_cmp_lt_u32 s82, s66                                      // 00000000DF0C: BF0A4252
	s_cselect_b32 s20, s36, s60                                // 00000000DF10: 85143C24
	v_readlane_b32 s82, v3, 7                                  // 00000000DF14: D2890052 00010F03
	s_and_b32 s82, s82, 0xffffff                               // 00000000DF1C: 8652FF52 00FFFFFF
	s_cmp_lt_u32 s82, s66                                      // 00000000DF24: BF0A4252
	s_cselect_b32 s21, s36, s60                                // 00000000DF28: 85153C24
	s_mov_b64 exec, s[20:21]                                   // 00000000DF2C: BEFE0114
	buffer_store_dword v69, v6, s[8:11], 0 offen               // 00000000DF30: E0701000 80024506
	buffer_store_dword v71, v6, s[8:11], 0 offen offset:128    // 00000000DF38: E0701080 80024706
	s_mov_b64 exec, s[36:37]                                   // 00000000DF40: BEFE0124
	v_mov_b32_e32 v6, v52                                      // 00000000DF44: 7E0C0334
	s_mov_b64 s[60:61], 0                                      // 00000000DF48: BEBC0180
	v_readlane_b32 s82, v3, 8                                  // 00000000DF4C: D2890052 00011103
	s_and_b32 s82, s82, 0xffffff                               // 00000000DF54: 8652FF52 00FFFFFF
	s_cmp_lt_u32 s82, s66                                      // 00000000DF5C: BF0A4252
	s_cselect_b32 s20, s36, s60                                // 00000000DF60: 85143C24
	v_readlane_b32 s82, v3, 9                                  // 00000000DF64: D2890052 00011303
	s_and_b32 s82, s82, 0xffffff                               // 00000000DF6C: 8652FF52 00FFFFFF
	s_cmp_lt_u32 s82, s66                                      // 00000000DF74: BF0A4252
	s_cselect_b32 s21, s36, s60                                // 00000000DF78: 85153C24
	s_mov_b64 exec, s[20:21]                                   // 00000000DF7C: BEFE0114
	buffer_store_dword v72, v6, s[8:11], 0 offen               // 00000000DF80: E0701000 80024806
	buffer_store_dword v74, v6, s[8:11], 0 offen offset:128    // 00000000DF88: E0701080 80024A06
	s_mov_b64 exec, s[36:37]                                   // 00000000DF90: BEFE0124
	v_mov_b32_e32 v6, v53                                      // 00000000DF94: 7E0C0335
	s_mov_b64 s[60:61], 0                                      // 00000000DF98: BEBC0180
	v_readlane_b32 s82, v3, 10                                 // 00000000DF9C: D2890052 00011503
	s_and_b32 s82, s82, 0xffffff                               // 00000000DFA4: 8652FF52 00FFFFFF
	s_cmp_lt_u32 s82, s66                                      // 00000000DFAC: BF0A4252
	s_cselect_b32 s20, s36, s60                                // 00000000DFB0: 85143C24
	v_readlane_b32 s82, v3, 11                                 // 00000000DFB4: D2890052 00011703
	s_and_b32 s82, s82, 0xffffff                               // 00000000DFBC: 8652FF52 00FFFFFF
	s_cmp_lt_u32 s82, s66                                      // 00000000DFC4: BF0A4252
	s_cselect_b32 s21, s36, s60                                // 00000000DFC8: 85153C24
	s_mov_b64 exec, s[20:21]                                   // 00000000DFCC: BEFE0114
	buffer_store_dword v73, v6, s[8:11], 0 offen               // 00000000DFD0: E0701000 80024906
	buffer_store_dword v75, v6, s[8:11], 0 offen offset:128    // 00000000DFD8: E0701080 80024B06
	s_mov_b64 exec, s[36:37]                                   // 00000000DFE0: BEFE0124
	v_mov_b32_e32 v6, v54                                      // 00000000DFE4: 7E0C0336
	s_mov_b64 s[60:61], 0                                      // 00000000DFE8: BEBC0180
	v_readlane_b32 s82, v3, 12                                 // 00000000DFEC: D2890052 00011903
	s_and_b32 s82, s82, 0xffffff                               // 00000000DFF4: 8652FF52 00FFFFFF
	s_cmp_lt_u32 s82, s66                                      // 00000000DFFC: BF0A4252
	s_cselect_b32 s20, s36, s60                                // 00000000E000: 85143C24
	v_readlane_b32 s82, v3, 13                                 // 00000000E004: D2890052 00011B03
	s_and_b32 s82, s82, 0xffffff                               // 00000000E00C: 8652FF52 00FFFFFF
	s_cmp_lt_u32 s82, s66                                      // 00000000E014: BF0A4252
	s_cselect_b32 s21, s36, s60                                // 00000000E018: 85153C24
	s_mov_b64 exec, s[20:21]                                   // 00000000E01C: BEFE0114
	buffer_store_dword v76, v6, s[8:11], 0 offen               // 00000000E020: E0701000 80024C06
	buffer_store_dword v78, v6, s[8:11], 0 offen offset:128    // 00000000E028: E0701080 80024E06
	s_mov_b64 exec, s[36:37]                                   // 00000000E030: BEFE0124
	v_mov_b32_e32 v6, v55                                      // 00000000E034: 7E0C0337
	s_mov_b64 s[60:61], 0                                      // 00000000E038: BEBC0180
	v_readlane_b32 s82, v3, 14                                 // 00000000E03C: D2890052 00011D03
	s_and_b32 s82, s82, 0xffffff                               // 00000000E044: 8652FF52 00FFFFFF
	s_cmp_lt_u32 s82, s66                                      // 00000000E04C: BF0A4252
	s_cselect_b32 s20, s36, s60                                // 00000000E050: 85143C24
	v_readlane_b32 s82, v3, 15                                 // 00000000E054: D2890052 00011F03
	s_and_b32 s82, s82, 0xffffff                               // 00000000E05C: 8652FF52 00FFFFFF
	s_cmp_lt_u32 s82, s66                                      // 00000000E064: BF0A4252
	s_cselect_b32 s21, s36, s60                                // 00000000E068: 85153C24
	s_mov_b64 exec, s[20:21]                                   // 00000000E06C: BEFE0114
	buffer_store_dword v77, v6, s[8:11], 0 offen               // 00000000E070: E0701000 80024D06
	buffer_store_dword v79, v6, s[8:11], 0 offen offset:128    // 00000000E078: E0701080 80024F06
	s_mov_b64 exec, s[36:37]                                   // 00000000E080: BEFE0124
	v_mov_b32_e32 v6, v56                                      // 00000000E084: 7E0C0338
	s_mov_b64 s[60:61], 0                                      // 00000000E088: BEBC0180
	v_readlane_b32 s82, v3, 16                                 // 00000000E08C: D2890052 00012103
	s_and_b32 s82, s82, 0xffffff                               // 00000000E094: 8652FF52 00FFFFFF
	s_cmp_lt_u32 s82, s66                                      // 00000000E09C: BF0A4252
	s_cselect_b32 s20, s36, s60                                // 00000000E0A0: 85143C24
	v_readlane_b32 s82, v3, 17                                 // 00000000E0A4: D2890052 00012303
	s_and_b32 s82, s82, 0xffffff                               // 00000000E0AC: 8652FF52 00FFFFFF
	s_cmp_lt_u32 s82, s66                                      // 00000000E0B4: BF0A4252
	s_cselect_b32 s21, s36, s60                                // 00000000E0B8: 85153C24
	s_mov_b64 exec, s[20:21]                                   // 00000000E0BC: BEFE0114
	buffer_store_dword v80, v6, s[8:11], 0 offen               // 00000000E0C0: E0701000 80025006
	buffer_store_dword v82, v6, s[8:11], 0 offen offset:128    // 00000000E0C8: E0701080 80025206
	s_mov_b64 exec, s[36:37]                                   // 00000000E0D0: BEFE0124
	v_mov_b32_e32 v6, v57                                      // 00000000E0D4: 7E0C0339
	s_mov_b64 s[60:61], 0                                      // 00000000E0D8: BEBC0180
	v_readlane_b32 s82, v3, 18                                 // 00000000E0DC: D2890052 00012503
	s_and_b32 s82, s82, 0xffffff                               // 00000000E0E4: 8652FF52 00FFFFFF
	s_cmp_lt_u32 s82, s66                                      // 00000000E0EC: BF0A4252
	s_cselect_b32 s20, s36, s60                                // 00000000E0F0: 85143C24
	v_readlane_b32 s82, v3, 19                                 // 00000000E0F4: D2890052 00012703
	s_and_b32 s82, s82, 0xffffff                               // 00000000E0FC: 8652FF52 00FFFFFF
	s_cmp_lt_u32 s82, s66                                      // 00000000E104: BF0A4252
	s_cselect_b32 s21, s36, s60                                // 00000000E108: 85153C24
	s_mov_b64 exec, s[20:21]                                   // 00000000E10C: BEFE0114
	buffer_store_dword v81, v6, s[8:11], 0 offen               // 00000000E110: E0701000 80025106
	buffer_store_dword v83, v6, s[8:11], 0 offen offset:128    // 00000000E118: E0701080 80025306
	s_mov_b64 exec, s[36:37]                                   // 00000000E120: BEFE0124
	s_cmp_eq_u32 s7, 0                                         // 00000000E124: BF068007
	s_cbranch_scc0 label_34C4                                  // 00000000E128: BF8406F6
	s_waitcnt vmcnt(20)                                        // 00000000E12C: BF8C4F74
	s_mov_b32 s8, s90                                          // 00000000E130: BE88005A
	s_mov_b32 s9, s91                                          // 00000000E134: BE89005B
	s_mul_i32 s60, s66, s71                                    // 00000000E138: 923C4742
	s_add_u32 s8, s60, s8                                      // 00000000E13C: 8008083C
	s_addc_u32 s9, 0, s9                                       // 00000000E140: 82090980
	s_lshr_b32 s71, s71, 5                                     // 00000000E144: 8F478547
	s_mul_i32 s60, s66, s71                                    // 00000000E148: 923C4742
	s_mov_b32 s10, s60                                         // 00000000E14C: BE8A003C
	s_lshr_b32 s61, s65, 5                                     // 00000000E150: 8F3D8541
	s_mul_i32 s60, s2, 8                                       // 00000000E154: 923C8802
	v_lshrrev_b32_e32 v4, 24, v28                              // 00000000E158: 20083898
	v_mul_lo_u32 v4, s61, v4                                   // 00000000E15C: D2850004 0002083D
	v_and_b32_e32 v28, 0xffffff, v28                           // 00000000E164: 263838FF 00FFFFFF
	v_mul_lo_u32 v28, s71, v28                                 // 00000000E16C: D285001C 00023847
	v_add_u32_e32 v28, v4, v28                                 // 00000000E174: 68383904
	v_add_u32_e32 v28, s60, v28                                // 00000000E178: 6838383C
	v_lshrrev_b32_e32 v4, 24, v29                              // 00000000E17C: 20083A98
	v_mul_lo_u32 v4, s61, v4                                   // 00000000E180: D2850004 0002083D
	v_and_b32_e32 v29, 0xffffff, v29                           // 00000000E188: 263A3AFF 00FFFFFF
	v_mul_lo_u32 v29, s71, v29                                 // 00000000E190: D285001D 00023A47
	v_add_u32_e32 v29, v4, v29                                 // 00000000E198: 683A3B04
	v_add_u32_e32 v29, s60, v29                                // 00000000E19C: 683A3A3C
	v_lshrrev_b32_e32 v4, 24, v30                              // 00000000E1A0: 20083C98
	v_mul_lo_u32 v4, s61, v4                                   // 00000000E1A4: D2850004 0002083D
	v_and_b32_e32 v30, 0xffffff, v30                           // 00000000E1AC: 263C3CFF 00FFFFFF
	v_mul_lo_u32 v30, s71, v30                                 // 00000000E1B4: D285001E 00023C47
	v_add_u32_e32 v30, v4, v30                                 // 00000000E1BC: 683C3D04
	v_add_u32_e32 v30, s60, v30                                // 00000000E1C0: 683C3C3C
	v_lshrrev_b32_e32 v4, 24, v31                              // 00000000E1C4: 20083E98
	v_mul_lo_u32 v4, s61, v4                                   // 00000000E1C8: D2850004 0002083D
	v_and_b32_e32 v31, 0xffffff, v31                           // 00000000E1D0: 263E3EFF 00FFFFFF
	v_mul_lo_u32 v31, s71, v31                                 // 00000000E1D8: D285001F 00023E47
	v_add_u32_e32 v31, v4, v31                                 // 00000000E1E0: 683E3F04
	v_add_u32_e32 v31, s60, v31                                // 00000000E1E4: 683E3E3C
	v_lshrrev_b32_e32 v4, 24, v32                              // 00000000E1E8: 20084098
	v_mul_lo_u32 v4, s61, v4                                   // 00000000E1EC: D2850004 0002083D
	v_and_b32_e32 v32, 0xffffff, v32                           // 00000000E1F4: 264040FF 00FFFFFF
	v_mul_lo_u32 v32, s71, v32                                 // 00000000E1FC: D2850020 00024047
	v_add_u32_e32 v32, v4, v32                                 // 00000000E204: 68404104
	v_add_u32_e32 v32, s60, v32                                // 00000000E208: 6840403C
	s_mov_b64 exec, 0xffff                                     // 00000000E20C: BEFE01FF 0000FFFF
	buffer_store_dword v144, v28, s[8:11], 0 offen             // 00000000E214: E0701000 8002901C
	buffer_store_dword v149, v28, s[8:11], 0 offen offset:4    // 00000000E21C: E0701004 8002951C
	buffer_store_dword v145, v29, s[8:11], 0 offen             // 00000000E224: E0701000 8002911D
	buffer_store_dword v150, v29, s[8:11], 0 offen offset:4    // 00000000E22C: E0701004 8002961D
	buffer_store_dword v146, v30, s[8:11], 0 offen             // 00000000E234: E0701000 8002921E
	buffer_store_dword v151, v30, s[8:11], 0 offen offset:4    // 00000000E23C: E0701004 8002971E
	buffer_store_dword v147, v31, s[8:11], 0 offen             // 00000000E244: E0701000 8002931F
	buffer_store_dword v152, v31, s[8:11], 0 offen offset:4    // 00000000E24C: E0701004 8002981F
	buffer_store_dword v148, v32, s[8:11], 0 offen             // 00000000E254: E0701000 80029420
	buffer_store_dword v153, v32, s[8:11], 0 offen offset:4    // 00000000E25C: E0701004 80029920
	s_mov_b64 exec, s[36:37]                                   // 00000000E264: BEFE0124
	s_branch label_34C4                                        // 00000000E268: BF8206A6

000000000000e26c <label_2E1E>:
	ds_write_b64 v20, v[64:65]                                 // 00000000E26C: D89A0000 00004014
	ds_write_b64 v20, v[68:69] offset:8704                     // 00000000E274: D89A2200 00004414
	ds_write_b64 v20, v[72:73] offset:17408                    // 00000000E27C: D89A4400 00004814
	ds_write_b64 v20, v[76:77] offset:26112                    // 00000000E284: D89A6600 00004C14
	ds_write_b64 v20, v[80:81] offset:34816                    // 00000000E28C: D89A8800 00005014
	ds_write_b64 v20, v[84:85] offset:2176                     // 00000000E294: D89A0880 00005414
	ds_write_b64 v20, v[88:89] offset:10880                    // 00000000E29C: D89A2A80 00005814
	ds_write_b64 v20, v[92:93] offset:19584                    // 00000000E2A4: D89A4C80 00005C14
	ds_write_b64 v20, v[96:97] offset:28288                    // 00000000E2AC: D89A6E80 00006014
	ds_write_b64 v20, v[100:101] offset:36992                  // 00000000E2B4: D89A9080 00006414
	ds_write_b64 v20, v[104:105] offset:4352                   // 00000000E2BC: D89A1100 00006814
	ds_write_b64 v20, v[108:109] offset:13056                  // 00000000E2C4: D89A3300 00006C14
	ds_write_b64 v20, v[112:113] offset:21760                  // 00000000E2CC: D89A5500 00007014
	ds_write_b64 v20, v[116:117] offset:30464                  // 00000000E2D4: D89A7700 00007414
	ds_write_b64 v20, v[120:121] offset:39168                  // 00000000E2DC: D89A9900 00007814
	ds_write_b64 v20, v[124:125] offset:6528                   // 00000000E2E4: D89A1980 00007C14
	ds_write_b64 v20, v[128:129] offset:15232                  // 00000000E2EC: D89A3B80 00008014
	ds_write_b64 v20, v[132:133] offset:23936                  // 00000000E2F4: D89A5D80 00008414
	ds_write_b64 v20, v[136:137] offset:32640                  // 00000000E2FC: D89A7F80 00008814
	ds_write_b64 v20, v[140:141] offset:41344                  // 00000000E304: D89AA180 00008C14
	v_lshrrev_b32_e32 v4, 5, v0                                // 00000000E30C: 20080085
	v_xor_b32_e32 v5, 1, v4                                    // 00000000E310: 2A0A0881
	s_mul_i32 s60, s65, 1                                      // 00000000E314: 923C8141
	s_cmp_eq_u32 s88, 0                                        // 00000000E318: BF068058
	s_cselect_b32 s61, 1, 8                                    // 00000000E31C: 853D8881
	s_mul_i32 s60, s61, s60                                    // 00000000E320: 923C3C3D
	v_readlane_b32 s82, v3, 0                                  // 00000000E324: D2890052 00010103
	s_lshr_b32 s61, s82, 24                                    // 00000000E32C: 8F3D9852
	s_and_b32 s82, s82, 0xffffff                               // 00000000E330: 8652FF52 00FFFFFF
	s_mul_i32 s82, s82, s71                                    // 00000000E338: 92524752
	s_mul_i32 s61, s60, s61                                    // 00000000E33C: 923D3D3C
	s_add_u32 s82, s82, s61                                    // 00000000E340: 80523D52
	v_mul_lo_u32 v6, v5, s82                                   // 00000000E344: D2850006 0000A505
	v_readlane_b32 s82, v3, 1                                  // 00000000E34C: D2890052 00010303
	s_lshr_b32 s61, s82, 24                                    // 00000000E354: 8F3D9852
	s_and_b32 s82, s82, 0xffffff                               // 00000000E358: 8652FF52 00FFFFFF
	s_mul_i32 s82, s82, s71                                    // 00000000E360: 92524752
	s_mul_i32 s61, s60, s61                                    // 00000000E364: 923D3D3C
	s_add_u32 s82, s82, s61                                    // 00000000E368: 80523D52
	v_mul_lo_u32 v7, v4, s82                                   // 00000000E36C: D2850007 0000A504
	v_add_u32_e32 v48, v6, v7                                  // 00000000E374: 68600F06
	v_readlane_b32 s82, v3, 2                                  // 00000000E378: D2890052 00010503
	s_lshr_b32 s61, s82, 24                                    // 00000000E380: 8F3D9852
	s_and_b32 s82, s82, 0xffffff                               // 00000000E384: 8652FF52 00FFFFFF
	s_mul_i32 s82, s82, s71                                    // 00000000E38C: 92524752
	s_mul_i32 s61, s60, s61                                    // 00000000E390: 923D3D3C
	s_add_u32 s82, s82, s61                                    // 00000000E394: 80523D52
	v_mul_lo_u32 v6, v5, s82                                   // 00000000E398: D2850006 0000A505
	v_readlane_b32 s82, v3, 3                                  // 00000000E3A0: D2890052 00010703
	s_lshr_b32 s61, s82, 24                                    // 00000000E3A8: 8F3D9852
	s_and_b32 s82, s82, 0xffffff                               // 00000000E3AC: 8652FF52 00FFFFFF
	s_mul_i32 s82, s82, s71                                    // 00000000E3B4: 92524752
	s_mul_i32 s61, s60, s61                                    // 00000000E3B8: 923D3D3C
	s_add_u32 s82, s82, s61                                    // 00000000E3BC: 80523D52
	v_mul_lo_u32 v7, v4, s82                                   // 00000000E3C0: D2850007 0000A504
	v_add_u32_e32 v49, v6, v7                                  // 00000000E3C8: 68620F06
	v_readlane_b32 s82, v3, 4                                  // 00000000E3CC: D2890052 00010903
	s_lshr_b32 s61, s82, 24                                    // 00000000E3D4: 8F3D9852
	s_and_b32 s82, s82, 0xffffff                               // 00000000E3D8: 8652FF52 00FFFFFF
	s_mul_i32 s82, s82, s71                                    // 00000000E3E0: 92524752
	s_mul_i32 s61, s60, s61                                    // 00000000E3E4: 923D3D3C
	s_add_u32 s82, s82, s61                                    // 00000000E3E8: 80523D52
	v_mul_lo_u32 v6, v5, s82                                   // 00000000E3EC: D2850006 0000A505
	v_readlane_b32 s82, v3, 5                                  // 00000000E3F4: D2890052 00010B03
	s_lshr_b32 s61, s82, 24                                    // 00000000E3FC: 8F3D9852
	s_and_b32 s82, s82, 0xffffff                               // 00000000E400: 8652FF52 00FFFFFF
	s_mul_i32 s82, s82, s71                                    // 00000000E408: 92524752
	s_mul_i32 s61, s60, s61                                    // 00000000E40C: 923D3D3C
	s_add_u32 s82, s82, s61                                    // 00000000E410: 80523D52
	v_mul_lo_u32 v7, v4, s82                                   // 00000000E414: D2850007 0000A504
	v_add_u32_e32 v50, v6, v7                                  // 00000000E41C: 68640F06
	v_readlane_b32 s82, v3, 6                                  // 00000000E420: D2890052 00010D03
	s_lshr_b32 s61, s82, 24                                    // 00000000E428: 8F3D9852
	s_and_b32 s82, s82, 0xffffff                               // 00000000E42C: 8652FF52 00FFFFFF
	s_mul_i32 s82, s82, s71                                    // 00000000E434: 92524752
	s_mul_i32 s61, s60, s61                                    // 00000000E438: 923D3D3C
	s_add_u32 s82, s82, s61                                    // 00000000E43C: 80523D52
	v_mul_lo_u32 v6, v5, s82                                   // 00000000E440: D2850006 0000A505
	v_readlane_b32 s82, v3, 7                                  // 00000000E448: D2890052 00010F03
	s_lshr_b32 s61, s82, 24                                    // 00000000E450: 8F3D9852
	s_and_b32 s82, s82, 0xffffff                               // 00000000E454: 8652FF52 00FFFFFF
	s_mul_i32 s82, s82, s71                                    // 00000000E45C: 92524752
	s_mul_i32 s61, s60, s61                                    // 00000000E460: 923D3D3C
	s_add_u32 s82, s82, s61                                    // 00000000E464: 80523D52
	v_mul_lo_u32 v7, v4, s82                                   // 00000000E468: D2850007 0000A504
	v_add_u32_e32 v51, v6, v7                                  // 00000000E470: 68660F06
	v_readlane_b32 s82, v3, 8                                  // 00000000E474: D2890052 00011103
	s_lshr_b32 s61, s82, 24                                    // 00000000E47C: 8F3D9852
	s_and_b32 s82, s82, 0xffffff                               // 00000000E480: 8652FF52 00FFFFFF
	s_mul_i32 s82, s82, s71                                    // 00000000E488: 92524752
	s_mul_i32 s61, s60, s61                                    // 00000000E48C: 923D3D3C
	s_add_u32 s82, s82, s61                                    // 00000000E490: 80523D52
	v_mul_lo_u32 v6, v5, s82                                   // 00000000E494: D2850006 0000A505
	v_readlane_b32 s82, v3, 9                                  // 00000000E49C: D2890052 00011303
	s_lshr_b32 s61, s82, 24                                    // 00000000E4A4: 8F3D9852
	s_and_b32 s82, s82, 0xffffff                               // 00000000E4A8: 8652FF52 00FFFFFF
	s_mul_i32 s82, s82, s71                                    // 00000000E4B0: 92524752
	s_mul_i32 s61, s60, s61                                    // 00000000E4B4: 923D3D3C
	s_add_u32 s82, s82, s61                                    // 00000000E4B8: 80523D52
	v_mul_lo_u32 v7, v4, s82                                   // 00000000E4BC: D2850007 0000A504
	v_add_u32_e32 v52, v6, v7                                  // 00000000E4C4: 68680F06
	v_readlane_b32 s82, v3, 10                                 // 00000000E4C8: D2890052 00011503
	s_lshr_b32 s61, s82, 24                                    // 00000000E4D0: 8F3D9852
	s_and_b32 s82, s82, 0xffffff                               // 00000000E4D4: 8652FF52 00FFFFFF
	s_mul_i32 s82, s82, s71                                    // 00000000E4DC: 92524752
	s_mul_i32 s61, s60, s61                                    // 00000000E4E0: 923D3D3C
	s_add_u32 s82, s82, s61                                    // 00000000E4E4: 80523D52
	v_mul_lo_u32 v6, v5, s82                                   // 00000000E4E8: D2850006 0000A505
	v_readlane_b32 s82, v3, 11                                 // 00000000E4F0: D2890052 00011703
	s_lshr_b32 s61, s82, 24                                    // 00000000E4F8: 8F3D9852
	s_and_b32 s82, s82, 0xffffff                               // 00000000E4FC: 8652FF52 00FFFFFF
	s_mul_i32 s82, s82, s71                                    // 00000000E504: 92524752
	s_mul_i32 s61, s60, s61                                    // 00000000E508: 923D3D3C
	s_add_u32 s82, s82, s61                                    // 00000000E50C: 80523D52
	v_mul_lo_u32 v7, v4, s82                                   // 00000000E510: D2850007 0000A504
	v_add_u32_e32 v53, v6, v7                                  // 00000000E518: 686A0F06
	v_readlane_b32 s82, v3, 12                                 // 00000000E51C: D2890052 00011903
	s_lshr_b32 s61, s82, 24                                    // 00000000E524: 8F3D9852
	s_and_b32 s82, s82, 0xffffff                               // 00000000E528: 8652FF52 00FFFFFF
	s_mul_i32 s82, s82, s71                                    // 00000000E530: 92524752
	s_mul_i32 s61, s60, s61                                    // 00000000E534: 923D3D3C
	s_add_u32 s82, s82, s61                                    // 00000000E538: 80523D52
	v_mul_lo_u32 v6, v5, s82                                   // 00000000E53C: D2850006 0000A505
	v_readlane_b32 s82, v3, 13                                 // 00000000E544: D2890052 00011B03
	s_lshr_b32 s61, s82, 24                                    // 00000000E54C: 8F3D9852
	s_and_b32 s82, s82, 0xffffff                               // 00000000E550: 8652FF52 00FFFFFF
	s_mul_i32 s82, s82, s71                                    // 00000000E558: 92524752
	s_mul_i32 s61, s60, s61                                    // 00000000E55C: 923D3D3C
	s_add_u32 s82, s82, s61                                    // 00000000E560: 80523D52
	v_mul_lo_u32 v7, v4, s82                                   // 00000000E564: D2850007 0000A504
	v_add_u32_e32 v54, v6, v7                                  // 00000000E56C: 686C0F06
	v_readlane_b32 s82, v3, 14                                 // 00000000E570: D2890052 00011D03
	s_lshr_b32 s61, s82, 24                                    // 00000000E578: 8F3D9852
	s_and_b32 s82, s82, 0xffffff                               // 00000000E57C: 8652FF52 00FFFFFF
	s_mul_i32 s82, s82, s71                                    // 00000000E584: 92524752
	s_mul_i32 s61, s60, s61                                    // 00000000E588: 923D3D3C
	s_add_u32 s82, s82, s61                                    // 00000000E58C: 80523D52
	v_mul_lo_u32 v6, v5, s82                                   // 00000000E590: D2850006 0000A505
	v_readlane_b32 s82, v3, 15                                 // 00000000E598: D2890052 00011F03
	s_lshr_b32 s61, s82, 24                                    // 00000000E5A0: 8F3D9852
	s_and_b32 s82, s82, 0xffffff                               // 00000000E5A4: 8652FF52 00FFFFFF
	s_mul_i32 s82, s82, s71                                    // 00000000E5AC: 92524752
	s_mul_i32 s61, s60, s61                                    // 00000000E5B0: 923D3D3C
	s_add_u32 s82, s82, s61                                    // 00000000E5B4: 80523D52
	v_mul_lo_u32 v7, v4, s82                                   // 00000000E5B8: D2850007 0000A504
	v_add_u32_e32 v55, v6, v7                                  // 00000000E5C0: 686E0F06
	v_readlane_b32 s82, v3, 16                                 // 00000000E5C4: D2890052 00012103
	s_lshr_b32 s61, s82, 24                                    // 00000000E5CC: 8F3D9852
	s_and_b32 s82, s82, 0xffffff                               // 00000000E5D0: 8652FF52 00FFFFFF
	s_mul_i32 s82, s82, s71                                    // 00000000E5D8: 92524752
	s_mul_i32 s61, s60, s61                                    // 00000000E5DC: 923D3D3C
	s_add_u32 s82, s82, s61                                    // 00000000E5E0: 80523D52
	v_mul_lo_u32 v6, v5, s82                                   // 00000000E5E4: D2850006 0000A505
	v_readlane_b32 s82, v3, 17                                 // 00000000E5EC: D2890052 00012303
	s_lshr_b32 s61, s82, 24                                    // 00000000E5F4: 8F3D9852
	s_and_b32 s82, s82, 0xffffff                               // 00000000E5F8: 8652FF52 00FFFFFF
	s_mul_i32 s82, s82, s71                                    // 00000000E600: 92524752
	s_mul_i32 s61, s60, s61                                    // 00000000E604: 923D3D3C
	s_add_u32 s82, s82, s61                                    // 00000000E608: 80523D52
	v_mul_lo_u32 v7, v4, s82                                   // 00000000E60C: D2850007 0000A504
	v_add_u32_e32 v56, v6, v7                                  // 00000000E614: 68700F06
	v_readlane_b32 s82, v3, 18                                 // 00000000E618: D2890052 00012503
	s_lshr_b32 s61, s82, 24                                    // 00000000E620: 8F3D9852
	s_and_b32 s82, s82, 0xffffff                               // 00000000E624: 8652FF52 00FFFFFF
	s_mul_i32 s82, s82, s71                                    // 00000000E62C: 92524752
	s_mul_i32 s61, s60, s61                                    // 00000000E630: 923D3D3C
	s_add_u32 s82, s82, s61                                    // 00000000E634: 80523D52
	v_mul_lo_u32 v6, v5, s82                                   // 00000000E638: D2850006 0000A505
	v_readlane_b32 s82, v3, 19                                 // 00000000E640: D2890052 00012703
	s_lshr_b32 s61, s82, 24                                    // 00000000E648: 8F3D9852
	s_and_b32 s82, s82, 0xffffff                               // 00000000E64C: 8652FF52 00FFFFFF
	s_mul_i32 s82, s82, s71                                    // 00000000E654: 92524752
	s_mul_i32 s61, s60, s61                                    // 00000000E658: 923D3D3C
	s_add_u32 s82, s82, s61                                    // 00000000E65C: 80523D52
	v_mul_lo_u32 v7, v4, s82                                   // 00000000E660: D2850007 0000A504
	v_add_u32_e32 v57, v6, v7                                  // 00000000E668: 68720F06
	v_and_b32_e32 v4, 31, v0                                   // 00000000E66C: 2608009F
	v_lshrrev_b32_e32 v4, 1, v4                                // 00000000E670: 20080881
	s_cmp_eq_u32 s88, 0                                        // 00000000E674: BF068058
	s_cselect_b32 s61, 2, 4                                    // 00000000E678: 853D8482
	v_mul_lo_u32 v4, v4, s61                                   // 00000000E67C: D2850004 00007B04
	v_and_b32_e64 v5, v0, 1                                    // 00000000E684: D1130005 00010300
	v_add_u32_e32 v4, v4, v5                                   // 00000000E68C: 68080B04
	v_lshlrev_b32_e32 v4, 2, v4                                // 00000000E690: 24080882
	v_add_u32_e32 v48, v48, v4                                 // 00000000E694: 68600930
	v_add_u32_e32 v49, v49, v4                                 // 00000000E698: 68620931
	v_add_u32_e32 v50, v50, v4                                 // 00000000E69C: 68640932
	v_add_u32_e32 v51, v51, v4                                 // 00000000E6A0: 68660933
	v_add_u32_e32 v52, v52, v4                                 // 00000000E6A4: 68680934
	v_add_u32_e32 v53, v53, v4                                 // 00000000E6A8: 686A0935
	v_add_u32_e32 v54, v54, v4                                 // 00000000E6AC: 686C0936
	v_add_u32_e32 v55, v55, v4                                 // 00000000E6B0: 686E0937
	v_add_u32_e32 v56, v56, v4                                 // 00000000E6B4: 68700938
	v_add_u32_e32 v57, v57, v4                                 // 00000000E6B8: 68720939
	s_waitcnt lgkmcnt(0)                                       // 00000000E6BC: BF8CC07F
	s_barrier                                                  // 00000000E6C0: BF8A0000
	ds_read_b32 v64, v21                                       // 00000000E6C4: D86C0000 40000015
	ds_read_b32 v65, v21 offset:64                             // 00000000E6CC: D86C0040 41000015
	ds_read_b32 v68, v21 offset:2176                           // 00000000E6D4: D86C0880 44000015
	ds_read_b32 v69, v21 offset:2240                           // 00000000E6DC: D86C08C0 45000015
	ds_read_b32 v72, v21 offset:4352                           // 00000000E6E4: D86C1100 48000015
	ds_read_b32 v73, v21 offset:4416                           // 00000000E6EC: D86C1140 49000015
	ds_read_b32 v76, v21 offset:6528                           // 00000000E6F4: D86C1980 4C000015
	ds_read_b32 v77, v21 offset:6592                           // 00000000E6FC: D86C19C0 4D000015
	ds_read_b32 v80, v21 offset:8704                           // 00000000E704: D86C2200 50000015
	ds_read_b32 v81, v21 offset:8768                           // 00000000E70C: D86C2240 51000015
	ds_read_b32 v84, v21 offset:10880                          // 00000000E714: D86C2A80 54000015
	ds_read_b32 v85, v21 offset:10944                          // 00000000E71C: D86C2AC0 55000015
	ds_read_b32 v88, v21 offset:13056                          // 00000000E724: D86C3300 58000015
	ds_read_b32 v89, v21 offset:13120                          // 00000000E72C: D86C3340 59000015
	ds_read_b32 v92, v21 offset:15232                          // 00000000E734: D86C3B80 5C000015
	ds_read_b32 v93, v21 offset:15296                          // 00000000E73C: D86C3BC0 5D000015
	ds_read_b32 v96, v21 offset:17408                          // 00000000E744: D86C4400 60000015
	ds_read_b32 v97, v21 offset:17472                          // 00000000E74C: D86C4440 61000015
	ds_read_b32 v100, v21 offset:19584                         // 00000000E754: D86C4C80 64000015
	ds_read_b32 v101, v21 offset:19648                         // 00000000E75C: D86C4CC0 65000015
	ds_read_b32 v104, v21 offset:21760                         // 00000000E764: D86C5500 68000015
	ds_read_b32 v105, v21 offset:21824                         // 00000000E76C: D86C5540 69000015
	ds_read_b32 v108, v21 offset:23936                         // 00000000E774: D86C5D80 6C000015
	ds_read_b32 v109, v21 offset:24000                         // 00000000E77C: D86C5DC0 6D000015
	ds_read_b32 v112, v21 offset:26112                         // 00000000E784: D86C6600 70000015
	ds_read_b32 v113, v21 offset:26176                         // 00000000E78C: D86C6640 71000015
	ds_read_b32 v116, v21 offset:28288                         // 00000000E794: D86C6E80 74000015
	ds_read_b32 v117, v21 offset:28352                         // 00000000E79C: D86C6EC0 75000015
	ds_read_b32 v120, v21 offset:30464                         // 00000000E7A4: D86C7700 78000015
	ds_read_b32 v121, v21 offset:30528                         // 00000000E7AC: D86C7740 79000015
	ds_read_b32 v124, v21 offset:32640                         // 00000000E7B4: D86C7F80 7C000015
	ds_read_b32 v125, v21 offset:32704                         // 00000000E7BC: D86C7FC0 7D000015
	ds_read_b32 v128, v21 offset:34816                         // 00000000E7C4: D86C8800 80000015
	ds_read_b32 v129, v21 offset:34880                         // 00000000E7CC: D86C8840 81000015
	ds_read_b32 v132, v21 offset:36992                         // 00000000E7D4: D86C9080 84000015
	ds_read_b32 v133, v21 offset:37056                         // 00000000E7DC: D86C90C0 85000015
	ds_read_b32 v136, v21 offset:39168                         // 00000000E7E4: D86C9900 88000015
	ds_read_b32 v137, v21 offset:39232                         // 00000000E7EC: D86C9940 89000015
	ds_read_b32 v140, v21 offset:41344                         // 00000000E7F4: D86CA180 8C000015
	ds_read_b32 v141, v21 offset:41408                         // 00000000E7FC: D86CA1C0 8D000015
	s_waitcnt lgkmcnt(0)                                       // 00000000E804: BF8CC07F
	s_mov_b32 s36, -1                                          // 00000000E808: BEA400C1
	s_mov_b32 s37, -1                                          // 00000000E80C: BEA500C1
	v_mov_b32_e32 v7, 0                                        // 00000000E810: 7E0E0280
	s_mov_b64 exec, s[36:37]                                   // 00000000E814: BEFE0124
	v_mov_b32_e32 v6, v48                                      // 00000000E818: 7E0C0330
	s_mov_b64 s[60:61], 0                                      // 00000000E81C: BEBC0180
	v_readlane_b32 s82, v3, 0                                  // 00000000E820: D2890052 00010103
	s_and_b32 s82, s82, 0xffffff                               // 00000000E828: 8652FF52 00FFFFFF
	s_cmp_lt_u32 s82, s66                                      // 00000000E830: BF0A4252
	s_cselect_b32 s20, s36, s60                                // 00000000E834: 85143C24
	v_readlane_b32 s82, v3, 1                                  // 00000000E838: D2890052 00010303
	s_and_b32 s82, s82, 0xffffff                               // 00000000E840: 8652FF52 00FFFFFF
	s_cmp_lt_u32 s82, s66                                      // 00000000E848: BF0A4252
	s_cselect_b32 s21, s36, s60                                // 00000000E84C: 85153C24
	s_mov_b64 exec, s[20:21]                                   // 00000000E850: BEFE0114
	global_atomic_add_f32 v6, v64, s[8:9]                      // 00000000E854: DD348000 00084006
	global_atomic_add_f32 v6, v68, s[8:9] offset:256           // 00000000E85C: DD348100 00084406
	global_atomic_add_f32 v6, v72, s[8:9] offset:512           // 00000000E864: DD348200 00084806
	global_atomic_add_f32 v6, v76, s[8:9] offset:768           // 00000000E86C: DD348300 00084C06
	s_mov_b64 exec, s[36:37]                                   // 00000000E874: BEFE0124
	v_mov_b32_e32 v6, v49                                      // 00000000E878: 7E0C0331
	s_mov_b64 s[60:61], 0                                      // 00000000E87C: BEBC0180
	v_readlane_b32 s82, v3, 2                                  // 00000000E880: D2890052 00010503
	s_and_b32 s82, s82, 0xffffff                               // 00000000E888: 8652FF52 00FFFFFF
	s_cmp_lt_u32 s82, s66                                      // 00000000E890: BF0A4252
	s_cselect_b32 s20, s36, s60                                // 00000000E894: 85143C24
	v_readlane_b32 s82, v3, 3                                  // 00000000E898: D2890052 00010703
	s_and_b32 s82, s82, 0xffffff                               // 00000000E8A0: 8652FF52 00FFFFFF
	s_cmp_lt_u32 s82, s66                                      // 00000000E8A8: BF0A4252
	s_cselect_b32 s21, s36, s60                                // 00000000E8AC: 85153C24
	s_mov_b64 exec, s[20:21]                                   // 00000000E8B0: BEFE0114
	global_atomic_add_f32 v6, v65, s[8:9]                      // 00000000E8B4: DD348000 00084106
	global_atomic_add_f32 v6, v69, s[8:9] offset:256           // 00000000E8BC: DD348100 00084506
	global_atomic_add_f32 v6, v73, s[8:9] offset:512           // 00000000E8C4: DD348200 00084906
	global_atomic_add_f32 v6, v77, s[8:9] offset:768           // 00000000E8CC: DD348300 00084D06
	s_mov_b64 exec, s[36:37]                                   // 00000000E8D4: BEFE0124
	v_mov_b32_e32 v6, v50                                      // 00000000E8D8: 7E0C0332
	s_mov_b64 s[60:61], 0                                      // 00000000E8DC: BEBC0180
	v_readlane_b32 s82, v3, 4                                  // 00000000E8E0: D2890052 00010903
	s_and_b32 s82, s82, 0xffffff                               // 00000000E8E8: 8652FF52 00FFFFFF
	s_cmp_lt_u32 s82, s66                                      // 00000000E8F0: BF0A4252
	s_cselect_b32 s20, s36, s60                                // 00000000E8F4: 85143C24
	v_readlane_b32 s82, v3, 5                                  // 00000000E8F8: D2890052 00010B03
	s_and_b32 s82, s82, 0xffffff                               // 00000000E900: 8652FF52 00FFFFFF
	s_cmp_lt_u32 s82, s66                                      // 00000000E908: BF0A4252
	s_cselect_b32 s21, s36, s60                                // 00000000E90C: 85153C24
	s_mov_b64 exec, s[20:21]                                   // 00000000E910: BEFE0114
	global_atomic_add_f32 v6, v80, s[8:9]                      // 00000000E914: DD348000 00085006
	global_atomic_add_f32 v6, v84, s[8:9] offset:256           // 00000000E91C: DD348100 00085406
	global_atomic_add_f32 v6, v88, s[8:9] offset:512           // 00000000E924: DD348200 00085806
	global_atomic_add_f32 v6, v92, s[8:9] offset:768           // 00000000E92C: DD348300 00085C06
	s_mov_b64 exec, s[36:37]                                   // 00000000E934: BEFE0124
	v_mov_b32_e32 v6, v51                                      // 00000000E938: 7E0C0333
	s_mov_b64 s[60:61], 0                                      // 00000000E93C: BEBC0180
	v_readlane_b32 s82, v3, 6                                  // 00000000E940: D2890052 00010D03
	s_and_b32 s82, s82, 0xffffff                               // 00000000E948: 8652FF52 00FFFFFF
	s_cmp_lt_u32 s82, s66                                      // 00000000E950: BF0A4252
	s_cselect_b32 s20, s36, s60                                // 00000000E954: 85143C24
	v_readlane_b32 s82, v3, 7                                  // 00000000E958: D2890052 00010F03
	s_and_b32 s82, s82, 0xffffff                               // 00000000E960: 8652FF52 00FFFFFF
	s_cmp_lt_u32 s82, s66                                      // 00000000E968: BF0A4252
	s_cselect_b32 s21, s36, s60                                // 00000000E96C: 85153C24
	s_mov_b64 exec, s[20:21]                                   // 00000000E970: BEFE0114
	global_atomic_add_f32 v6, v81, s[8:9]                      // 00000000E974: DD348000 00085106
	global_atomic_add_f32 v6, v85, s[8:9] offset:256           // 00000000E97C: DD348100 00085506
	global_atomic_add_f32 v6, v89, s[8:9] offset:512           // 00000000E984: DD348200 00085906
	global_atomic_add_f32 v6, v93, s[8:9] offset:768           // 00000000E98C: DD348300 00085D06
	s_mov_b64 exec, s[36:37]                                   // 00000000E994: BEFE0124
	v_mov_b32_e32 v6, v52                                      // 00000000E998: 7E0C0334
	s_mov_b64 s[60:61], 0                                      // 00000000E99C: BEBC0180
	v_readlane_b32 s82, v3, 8                                  // 00000000E9A0: D2890052 00011103
	s_and_b32 s82, s82, 0xffffff                               // 00000000E9A8: 8652FF52 00FFFFFF
	s_cmp_lt_u32 s82, s66                                      // 00000000E9B0: BF0A4252
	s_cselect_b32 s20, s36, s60                                // 00000000E9B4: 85143C24
	v_readlane_b32 s82, v3, 9                                  // 00000000E9B8: D2890052 00011303
	s_and_b32 s82, s82, 0xffffff                               // 00000000E9C0: 8652FF52 00FFFFFF
	s_cmp_lt_u32 s82, s66                                      // 00000000E9C8: BF0A4252
	s_cselect_b32 s21, s36, s60                                // 00000000E9CC: 85153C24
	s_mov_b64 exec, s[20:21]                                   // 00000000E9D0: BEFE0114
	global_atomic_add_f32 v6, v96, s[8:9]                      // 00000000E9D4: DD348000 00086006
	global_atomic_add_f32 v6, v100, s[8:9] offset:256          // 00000000E9DC: DD348100 00086406
	global_atomic_add_f32 v6, v104, s[8:9] offset:512          // 00000000E9E4: DD348200 00086806
	global_atomic_add_f32 v6, v108, s[8:9] offset:768          // 00000000E9EC: DD348300 00086C06
	s_mov_b64 exec, s[36:37]                                   // 00000000E9F4: BEFE0124
	v_mov_b32_e32 v6, v53                                      // 00000000E9F8: 7E0C0335
	s_mov_b64 s[60:61], 0                                      // 00000000E9FC: BEBC0180
	v_readlane_b32 s82, v3, 10                                 // 00000000EA00: D2890052 00011503
	s_and_b32 s82, s82, 0xffffff                               // 00000000EA08: 8652FF52 00FFFFFF
	s_cmp_lt_u32 s82, s66                                      // 00000000EA10: BF0A4252
	s_cselect_b32 s20, s36, s60                                // 00000000EA14: 85143C24
	v_readlane_b32 s82, v3, 11                                 // 00000000EA18: D2890052 00011703
	s_and_b32 s82, s82, 0xffffff                               // 00000000EA20: 8652FF52 00FFFFFF
	s_cmp_lt_u32 s82, s66                                      // 00000000EA28: BF0A4252
	s_cselect_b32 s21, s36, s60                                // 00000000EA2C: 85153C24
	s_mov_b64 exec, s[20:21]                                   // 00000000EA30: BEFE0114
	global_atomic_add_f32 v6, v97, s[8:9]                      // 00000000EA34: DD348000 00086106
	global_atomic_add_f32 v6, v101, s[8:9] offset:256          // 00000000EA3C: DD348100 00086506
	global_atomic_add_f32 v6, v105, s[8:9] offset:512          // 00000000EA44: DD348200 00086906
	global_atomic_add_f32 v6, v109, s[8:9] offset:768          // 00000000EA4C: DD348300 00086D06
	s_mov_b64 exec, s[36:37]                                   // 00000000EA54: BEFE0124
	v_mov_b32_e32 v6, v54                                      // 00000000EA58: 7E0C0336
	s_mov_b64 s[60:61], 0                                      // 00000000EA5C: BEBC0180
	v_readlane_b32 s82, v3, 12                                 // 00000000EA60: D2890052 00011903
	s_and_b32 s82, s82, 0xffffff                               // 00000000EA68: 8652FF52 00FFFFFF
	s_cmp_lt_u32 s82, s66                                      // 00000000EA70: BF0A4252
	s_cselect_b32 s20, s36, s60                                // 00000000EA74: 85143C24
	v_readlane_b32 s82, v3, 13                                 // 00000000EA78: D2890052 00011B03
	s_and_b32 s82, s82, 0xffffff                               // 00000000EA80: 8652FF52 00FFFFFF
	s_cmp_lt_u32 s82, s66                                      // 00000000EA88: BF0A4252
	s_cselect_b32 s21, s36, s60                                // 00000000EA8C: 85153C24
	s_mov_b64 exec, s[20:21]                                   // 00000000EA90: BEFE0114
	global_atomic_add_f32 v6, v112, s[8:9]                     // 00000000EA94: DD348000 00087006
	global_atomic_add_f32 v6, v116, s[8:9] offset:256          // 00000000EA9C: DD348100 00087406
	global_atomic_add_f32 v6, v120, s[8:9] offset:512          // 00000000EAA4: DD348200 00087806
	global_atomic_add_f32 v6, v124, s[8:9] offset:768          // 00000000EAAC: DD348300 00087C06
	s_mov_b64 exec, s[36:37]                                   // 00000000EAB4: BEFE0124
	v_mov_b32_e32 v6, v55                                      // 00000000EAB8: 7E0C0337
	s_mov_b64 s[60:61], 0                                      // 00000000EABC: BEBC0180
	v_readlane_b32 s82, v3, 14                                 // 00000000EAC0: D2890052 00011D03
	s_and_b32 s82, s82, 0xffffff                               // 00000000EAC8: 8652FF52 00FFFFFF
	s_cmp_lt_u32 s82, s66                                      // 00000000EAD0: BF0A4252
	s_cselect_b32 s20, s36, s60                                // 00000000EAD4: 85143C24
	v_readlane_b32 s82, v3, 15                                 // 00000000EAD8: D2890052 00011F03
	s_and_b32 s82, s82, 0xffffff                               // 00000000EAE0: 8652FF52 00FFFFFF
	s_cmp_lt_u32 s82, s66                                      // 00000000EAE8: BF0A4252
	s_cselect_b32 s21, s36, s60                                // 00000000EAEC: 85153C24
	s_mov_b64 exec, s[20:21]                                   // 00000000EAF0: BEFE0114
	global_atomic_add_f32 v6, v113, s[8:9]                     // 00000000EAF4: DD348000 00087106
	global_atomic_add_f32 v6, v117, s[8:9] offset:256          // 00000000EAFC: DD348100 00087506
	global_atomic_add_f32 v6, v121, s[8:9] offset:512          // 00000000EB04: DD348200 00087906
	global_atomic_add_f32 v6, v125, s[8:9] offset:768          // 00000000EB0C: DD348300 00087D06
	s_mov_b64 exec, s[36:37]                                   // 00000000EB14: BEFE0124
	v_mov_b32_e32 v6, v56                                      // 00000000EB18: 7E0C0338
	s_mov_b64 s[60:61], 0                                      // 00000000EB1C: BEBC0180
	v_readlane_b32 s82, v3, 16                                 // 00000000EB20: D2890052 00012103
	s_and_b32 s82, s82, 0xffffff                               // 00000000EB28: 8652FF52 00FFFFFF
	s_cmp_lt_u32 s82, s66                                      // 00000000EB30: BF0A4252
	s_cselect_b32 s20, s36, s60                                // 00000000EB34: 85143C24
	v_readlane_b32 s82, v3, 17                                 // 00000000EB38: D2890052 00012303
	s_and_b32 s82, s82, 0xffffff                               // 00000000EB40: 8652FF52 00FFFFFF
	s_cmp_lt_u32 s82, s66                                      // 00000000EB48: BF0A4252
	s_cselect_b32 s21, s36, s60                                // 00000000EB4C: 85153C24
	s_mov_b64 exec, s[20:21]                                   // 00000000EB50: BEFE0114
	global_atomic_add_f32 v6, v128, s[8:9]                     // 00000000EB54: DD348000 00088006
	global_atomic_add_f32 v6, v132, s[8:9] offset:256          // 00000000EB5C: DD348100 00088406
	global_atomic_add_f32 v6, v136, s[8:9] offset:512          // 00000000EB64: DD348200 00088806
	global_atomic_add_f32 v6, v140, s[8:9] offset:768          // 00000000EB6C: DD348300 00088C06
	s_mov_b64 exec, s[36:37]                                   // 00000000EB74: BEFE0124
	v_mov_b32_e32 v6, v57                                      // 00000000EB78: 7E0C0339
	s_mov_b64 s[60:61], 0                                      // 00000000EB7C: BEBC0180
	v_readlane_b32 s82, v3, 18                                 // 00000000EB80: D2890052 00012503
	s_and_b32 s82, s82, 0xffffff                               // 00000000EB88: 8652FF52 00FFFFFF
	s_cmp_lt_u32 s82, s66                                      // 00000000EB90: BF0A4252
	s_cselect_b32 s20, s36, s60                                // 00000000EB94: 85143C24
	v_readlane_b32 s82, v3, 19                                 // 00000000EB98: D2890052 00012703
	s_and_b32 s82, s82, 0xffffff                               // 00000000EBA0: 8652FF52 00FFFFFF
	s_cmp_lt_u32 s82, s66                                      // 00000000EBA8: BF0A4252
	s_cselect_b32 s21, s36, s60                                // 00000000EBAC: 85153C24
	s_mov_b64 exec, s[20:21]                                   // 00000000EBB0: BEFE0114
	global_atomic_add_f32 v6, v129, s[8:9]                     // 00000000EBB4: DD348000 00088106
	global_atomic_add_f32 v6, v133, s[8:9] offset:256          // 00000000EBBC: DD348100 00088506
	global_atomic_add_f32 v6, v137, s[8:9] offset:512          // 00000000EBC4: DD348200 00088906
	global_atomic_add_f32 v6, v141, s[8:9] offset:768          // 00000000EBCC: DD348300 00088D06
	s_mov_b64 exec, s[36:37]                                   // 00000000EBD4: BEFE0124
	ds_write_b64 v20, v[66:67]                                 // 00000000EBD8: D89A0000 00004214
	ds_write_b64 v20, v[70:71] offset:8704                     // 00000000EBE0: D89A2200 00004614
	ds_write_b64 v20, v[74:75] offset:17408                    // 00000000EBE8: D89A4400 00004A14
	ds_write_b64 v20, v[78:79] offset:26112                    // 00000000EBF0: D89A6600 00004E14
	ds_write_b64 v20, v[82:83] offset:34816                    // 00000000EBF8: D89A8800 00005214
	ds_write_b64 v20, v[86:87] offset:2176                     // 00000000EC00: D89A0880 00005614
	ds_write_b64 v20, v[90:91] offset:10880                    // 00000000EC08: D89A2A80 00005A14
	ds_write_b64 v20, v[94:95] offset:19584                    // 00000000EC10: D89A4C80 00005E14
	ds_write_b64 v20, v[98:99] offset:28288                    // 00000000EC18: D89A6E80 00006214
	ds_write_b64 v20, v[102:103] offset:36992                  // 00000000EC20: D89A9080 00006614
	ds_write_b64 v20, v[106:107] offset:4352                   // 00000000EC28: D89A1100 00006A14
	ds_write_b64 v20, v[110:111] offset:13056                  // 00000000EC30: D89A3300 00006E14
	ds_write_b64 v20, v[114:115] offset:21760                  // 00000000EC38: D89A5500 00007214
	ds_write_b64 v20, v[118:119] offset:30464                  // 00000000EC40: D89A7700 00007614
	ds_write_b64 v20, v[122:123] offset:39168                  // 00000000EC48: D89A9900 00007A14
	ds_write_b64 v20, v[126:127] offset:6528                   // 00000000EC50: D89A1980 00007E14
	ds_write_b64 v20, v[130:131] offset:15232                  // 00000000EC58: D89A3B80 00008214
	ds_write_b64 v20, v[134:135] offset:23936                  // 00000000EC60: D89A5D80 00008614
	ds_write_b64 v20, v[138:139] offset:32640                  // 00000000EC68: D89A7F80 00008A14
	ds_write_b64 v20, v[142:143] offset:41344                  // 00000000EC70: D89AA180 00008E14
	s_waitcnt lgkmcnt(0)                                       // 00000000EC78: BF8CC07F
	s_barrier                                                  // 00000000EC7C: BF8A0000
	ds_read_b32 v66, v21                                       // 00000000EC80: D86C0000 42000015
	ds_read_b32 v67, v21 offset:64                             // 00000000EC88: D86C0040 43000015
	ds_read_b32 v70, v21 offset:2176                           // 00000000EC90: D86C0880 46000015
	ds_read_b32 v71, v21 offset:2240                           // 00000000EC98: D86C08C0 47000015
	ds_read_b32 v74, v21 offset:4352                           // 00000000ECA0: D86C1100 4A000015
	ds_read_b32 v75, v21 offset:4416                           // 00000000ECA8: D86C1140 4B000015
	ds_read_b32 v78, v21 offset:6528                           // 00000000ECB0: D86C1980 4E000015
	ds_read_b32 v79, v21 offset:6592                           // 00000000ECB8: D86C19C0 4F000015
	ds_read_b32 v82, v21 offset:8704                           // 00000000ECC0: D86C2200 52000015
	ds_read_b32 v83, v21 offset:8768                           // 00000000ECC8: D86C2240 53000015
	ds_read_b32 v86, v21 offset:10880                          // 00000000ECD0: D86C2A80 56000015
	ds_read_b32 v87, v21 offset:10944                          // 00000000ECD8: D86C2AC0 57000015
	ds_read_b32 v90, v21 offset:13056                          // 00000000ECE0: D86C3300 5A000015
	ds_read_b32 v91, v21 offset:13120                          // 00000000ECE8: D86C3340 5B000015
	ds_read_b32 v94, v21 offset:15232                          // 00000000ECF0: D86C3B80 5E000015
	ds_read_b32 v95, v21 offset:15296                          // 00000000ECF8: D86C3BC0 5F000015
	ds_read_b32 v98, v21 offset:17408                          // 00000000ED00: D86C4400 62000015
	ds_read_b32 v99, v21 offset:17472                          // 00000000ED08: D86C4440 63000015
	ds_read_b32 v102, v21 offset:19584                         // 00000000ED10: D86C4C80 66000015
	ds_read_b32 v103, v21 offset:19648                         // 00000000ED18: D86C4CC0 67000015
	ds_read_b32 v106, v21 offset:21760                         // 00000000ED20: D86C5500 6A000015
	ds_read_b32 v107, v21 offset:21824                         // 00000000ED28: D86C5540 6B000015
	ds_read_b32 v110, v21 offset:23936                         // 00000000ED30: D86C5D80 6E000015
	ds_read_b32 v111, v21 offset:24000                         // 00000000ED38: D86C5DC0 6F000015
	ds_read_b32 v114, v21 offset:26112                         // 00000000ED40: D86C6600 72000015
	ds_read_b32 v115, v21 offset:26176                         // 00000000ED48: D86C6640 73000015
	ds_read_b32 v118, v21 offset:28288                         // 00000000ED50: D86C6E80 76000015
	ds_read_b32 v119, v21 offset:28352                         // 00000000ED58: D86C6EC0 77000015
	ds_read_b32 v122, v21 offset:30464                         // 00000000ED60: D86C7700 7A000015
	ds_read_b32 v123, v21 offset:30528                         // 00000000ED68: D86C7740 7B000015
	ds_read_b32 v126, v21 offset:32640                         // 00000000ED70: D86C7F80 7E000015
	ds_read_b32 v127, v21 offset:32704                         // 00000000ED78: D86C7FC0 7F000015
	ds_read_b32 v130, v21 offset:34816                         // 00000000ED80: D86C8800 82000015
	ds_read_b32 v131, v21 offset:34880                         // 00000000ED88: D86C8840 83000015
	ds_read_b32 v134, v21 offset:36992                         // 00000000ED90: D86C9080 86000015
	ds_read_b32 v135, v21 offset:37056                         // 00000000ED98: D86C90C0 87000015
	ds_read_b32 v138, v21 offset:39168                         // 00000000EDA0: D86C9900 8A000015
	ds_read_b32 v139, v21 offset:39232                         // 00000000EDA8: D86C9940 8B000015
	ds_read_b32 v142, v21 offset:41344                         // 00000000EDB0: D86CA180 8E000015
	ds_read_b32 v143, v21 offset:41408                         // 00000000EDB8: D86CA1C0 8F000015
	s_waitcnt lgkmcnt(0)                                       // 00000000EDC0: BF8CC07F
	v_mov_b32_e32 v7, 0                                        // 00000000EDC4: 7E0E0280
	s_mov_b64 exec, s[36:37]                                   // 00000000EDC8: BEFE0124
	v_mov_b32_e32 v6, v48                                      // 00000000EDCC: 7E0C0330
	s_mov_b64 s[60:61], 0                                      // 00000000EDD0: BEBC0180
	v_readlane_b32 s82, v3, 0                                  // 00000000EDD4: D2890052 00010103
	s_and_b32 s82, s82, 0xffffff                               // 00000000EDDC: 8652FF52 00FFFFFF
	s_cmp_lt_u32 s82, s66                                      // 00000000EDE4: BF0A4252
	s_cselect_b32 s20, s36, s60                                // 00000000EDE8: 85143C24
	v_readlane_b32 s82, v3, 1                                  // 00000000EDEC: D2890052 00010303
	s_and_b32 s82, s82, 0xffffff                               // 00000000EDF4: 8652FF52 00FFFFFF
	s_cmp_lt_u32 s82, s66                                      // 00000000EDFC: BF0A4252
	s_cselect_b32 s21, s36, s60                                // 00000000EE00: 85153C24
	s_mov_b64 exec, s[20:21]                                   // 00000000EE04: BEFE0114
	global_atomic_add_f32 v6, v66, s[8:9] offset:8             // 00000000EE08: DD348008 00084206
	global_atomic_add_f32 v6, v70, s[8:9] offset:264           // 00000000EE10: DD348108 00084606
	global_atomic_add_f32 v6, v74, s[8:9] offset:520           // 00000000EE18: DD348208 00084A06
	global_atomic_add_f32 v6, v78, s[8:9] offset:776           // 00000000EE20: DD348308 00084E06
	s_mov_b64 exec, s[36:37]                                   // 00000000EE28: BEFE0124
	v_mov_b32_e32 v6, v49                                      // 00000000EE2C: 7E0C0331
	s_mov_b64 s[60:61], 0                                      // 00000000EE30: BEBC0180
	v_readlane_b32 s82, v3, 2                                  // 00000000EE34: D2890052 00010503
	s_and_b32 s82, s82, 0xffffff                               // 00000000EE3C: 8652FF52 00FFFFFF
	s_cmp_lt_u32 s82, s66                                      // 00000000EE44: BF0A4252
	s_cselect_b32 s20, s36, s60                                // 00000000EE48: 85143C24
	v_readlane_b32 s82, v3, 3                                  // 00000000EE4C: D2890052 00010703
	s_and_b32 s82, s82, 0xffffff                               // 00000000EE54: 8652FF52 00FFFFFF
	s_cmp_lt_u32 s82, s66                                      // 00000000EE5C: BF0A4252
	s_cselect_b32 s21, s36, s60                                // 00000000EE60: 85153C24
	s_mov_b64 exec, s[20:21]                                   // 00000000EE64: BEFE0114
	global_atomic_add_f32 v6, v67, s[8:9] offset:8             // 00000000EE68: DD348008 00084306
	global_atomic_add_f32 v6, v71, s[8:9] offset:264           // 00000000EE70: DD348108 00084706
	global_atomic_add_f32 v6, v75, s[8:9] offset:520           // 00000000EE78: DD348208 00084B06
	global_atomic_add_f32 v6, v79, s[8:9] offset:776           // 00000000EE80: DD348308 00084F06
	s_mov_b64 exec, s[36:37]                                   // 00000000EE88: BEFE0124
	v_mov_b32_e32 v6, v50                                      // 00000000EE8C: 7E0C0332
	s_mov_b64 s[60:61], 0                                      // 00000000EE90: BEBC0180
	v_readlane_b32 s82, v3, 4                                  // 00000000EE94: D2890052 00010903
	s_and_b32 s82, s82, 0xffffff                               // 00000000EE9C: 8652FF52 00FFFFFF
	s_cmp_lt_u32 s82, s66                                      // 00000000EEA4: BF0A4252
	s_cselect_b32 s20, s36, s60                                // 00000000EEA8: 85143C24
	v_readlane_b32 s82, v3, 5                                  // 00000000EEAC: D2890052 00010B03
	s_and_b32 s82, s82, 0xffffff                               // 00000000EEB4: 8652FF52 00FFFFFF
	s_cmp_lt_u32 s82, s66                                      // 00000000EEBC: BF0A4252
	s_cselect_b32 s21, s36, s60                                // 00000000EEC0: 85153C24
	s_mov_b64 exec, s[20:21]                                   // 00000000EEC4: BEFE0114
	global_atomic_add_f32 v6, v82, s[8:9] offset:8             // 00000000EEC8: DD348008 00085206
	global_atomic_add_f32 v6, v86, s[8:9] offset:264           // 00000000EED0: DD348108 00085606
	global_atomic_add_f32 v6, v90, s[8:9] offset:520           // 00000000EED8: DD348208 00085A06
	global_atomic_add_f32 v6, v94, s[8:9] offset:776           // 00000000EEE0: DD348308 00085E06
	s_mov_b64 exec, s[36:37]                                   // 00000000EEE8: BEFE0124
	v_mov_b32_e32 v6, v51                                      // 00000000EEEC: 7E0C0333
	s_mov_b64 s[60:61], 0                                      // 00000000EEF0: BEBC0180
	v_readlane_b32 s82, v3, 6                                  // 00000000EEF4: D2890052 00010D03
	s_and_b32 s82, s82, 0xffffff                               // 00000000EEFC: 8652FF52 00FFFFFF
	s_cmp_lt_u32 s82, s66                                      // 00000000EF04: BF0A4252
	s_cselect_b32 s20, s36, s60                                // 00000000EF08: 85143C24
	v_readlane_b32 s82, v3, 7                                  // 00000000EF0C: D2890052 00010F03
	s_and_b32 s82, s82, 0xffffff                               // 00000000EF14: 8652FF52 00FFFFFF
	s_cmp_lt_u32 s82, s66                                      // 00000000EF1C: BF0A4252
	s_cselect_b32 s21, s36, s60                                // 00000000EF20: 85153C24
	s_mov_b64 exec, s[20:21]                                   // 00000000EF24: BEFE0114
	global_atomic_add_f32 v6, v83, s[8:9] offset:8             // 00000000EF28: DD348008 00085306
	global_atomic_add_f32 v6, v87, s[8:9] offset:264           // 00000000EF30: DD348108 00085706
	global_atomic_add_f32 v6, v91, s[8:9] offset:520           // 00000000EF38: DD348208 00085B06
	global_atomic_add_f32 v6, v95, s[8:9] offset:776           // 00000000EF40: DD348308 00085F06
	s_mov_b64 exec, s[36:37]                                   // 00000000EF48: BEFE0124
	v_mov_b32_e32 v6, v52                                      // 00000000EF4C: 7E0C0334
	s_mov_b64 s[60:61], 0                                      // 00000000EF50: BEBC0180
	v_readlane_b32 s82, v3, 8                                  // 00000000EF54: D2890052 00011103
	s_and_b32 s82, s82, 0xffffff                               // 00000000EF5C: 8652FF52 00FFFFFF
	s_cmp_lt_u32 s82, s66                                      // 00000000EF64: BF0A4252
	s_cselect_b32 s20, s36, s60                                // 00000000EF68: 85143C24
	v_readlane_b32 s82, v3, 9                                  // 00000000EF6C: D2890052 00011303
	s_and_b32 s82, s82, 0xffffff                               // 00000000EF74: 8652FF52 00FFFFFF
	s_cmp_lt_u32 s82, s66                                      // 00000000EF7C: BF0A4252
	s_cselect_b32 s21, s36, s60                                // 00000000EF80: 85153C24
	s_mov_b64 exec, s[20:21]                                   // 00000000EF84: BEFE0114
	global_atomic_add_f32 v6, v98, s[8:9] offset:8             // 00000000EF88: DD348008 00086206
	global_atomic_add_f32 v6, v102, s[8:9] offset:264          // 00000000EF90: DD348108 00086606
	global_atomic_add_f32 v6, v106, s[8:9] offset:520          // 00000000EF98: DD348208 00086A06
	global_atomic_add_f32 v6, v110, s[8:9] offset:776          // 00000000EFA0: DD348308 00086E06
	s_mov_b64 exec, s[36:37]                                   // 00000000EFA8: BEFE0124
	v_mov_b32_e32 v6, v53                                      // 00000000EFAC: 7E0C0335
	s_mov_b64 s[60:61], 0                                      // 00000000EFB0: BEBC0180
	v_readlane_b32 s82, v3, 10                                 // 00000000EFB4: D2890052 00011503
	s_and_b32 s82, s82, 0xffffff                               // 00000000EFBC: 8652FF52 00FFFFFF
	s_cmp_lt_u32 s82, s66                                      // 00000000EFC4: BF0A4252
	s_cselect_b32 s20, s36, s60                                // 00000000EFC8: 85143C24
	v_readlane_b32 s82, v3, 11                                 // 00000000EFCC: D2890052 00011703
	s_and_b32 s82, s82, 0xffffff                               // 00000000EFD4: 8652FF52 00FFFFFF
	s_cmp_lt_u32 s82, s66                                      // 00000000EFDC: BF0A4252
	s_cselect_b32 s21, s36, s60                                // 00000000EFE0: 85153C24
	s_mov_b64 exec, s[20:21]                                   // 00000000EFE4: BEFE0114
	global_atomic_add_f32 v6, v99, s[8:9] offset:8             // 00000000EFE8: DD348008 00086306
	global_atomic_add_f32 v6, v103, s[8:9] offset:264          // 00000000EFF0: DD348108 00086706
	global_atomic_add_f32 v6, v107, s[8:9] offset:520          // 00000000EFF8: DD348208 00086B06
	global_atomic_add_f32 v6, v111, s[8:9] offset:776          // 00000000F000: DD348308 00086F06
	s_mov_b64 exec, s[36:37]                                   // 00000000F008: BEFE0124
	v_mov_b32_e32 v6, v54                                      // 00000000F00C: 7E0C0336
	s_mov_b64 s[60:61], 0                                      // 00000000F010: BEBC0180
	v_readlane_b32 s82, v3, 12                                 // 00000000F014: D2890052 00011903
	s_and_b32 s82, s82, 0xffffff                               // 00000000F01C: 8652FF52 00FFFFFF
	s_cmp_lt_u32 s82, s66                                      // 00000000F024: BF0A4252
	s_cselect_b32 s20, s36, s60                                // 00000000F028: 85143C24
	v_readlane_b32 s82, v3, 13                                 // 00000000F02C: D2890052 00011B03
	s_and_b32 s82, s82, 0xffffff                               // 00000000F034: 8652FF52 00FFFFFF
	s_cmp_lt_u32 s82, s66                                      // 00000000F03C: BF0A4252
	s_cselect_b32 s21, s36, s60                                // 00000000F040: 85153C24
	s_mov_b64 exec, s[20:21]                                   // 00000000F044: BEFE0114
	global_atomic_add_f32 v6, v114, s[8:9] offset:8            // 00000000F048: DD348008 00087206
	global_atomic_add_f32 v6, v118, s[8:9] offset:264          // 00000000F050: DD348108 00087606
	global_atomic_add_f32 v6, v122, s[8:9] offset:520          // 00000000F058: DD348208 00087A06
	global_atomic_add_f32 v6, v126, s[8:9] offset:776          // 00000000F060: DD348308 00087E06
	s_mov_b64 exec, s[36:37]                                   // 00000000F068: BEFE0124
	v_mov_b32_e32 v6, v55                                      // 00000000F06C: 7E0C0337
	s_mov_b64 s[60:61], 0                                      // 00000000F070: BEBC0180
	v_readlane_b32 s82, v3, 14                                 // 00000000F074: D2890052 00011D03
	s_and_b32 s82, s82, 0xffffff                               // 00000000F07C: 8652FF52 00FFFFFF
	s_cmp_lt_u32 s82, s66                                      // 00000000F084: BF0A4252
	s_cselect_b32 s20, s36, s60                                // 00000000F088: 85143C24
	v_readlane_b32 s82, v3, 15                                 // 00000000F08C: D2890052 00011F03
	s_and_b32 s82, s82, 0xffffff                               // 00000000F094: 8652FF52 00FFFFFF
	s_cmp_lt_u32 s82, s66                                      // 00000000F09C: BF0A4252
	s_cselect_b32 s21, s36, s60                                // 00000000F0A0: 85153C24
	s_mov_b64 exec, s[20:21]                                   // 00000000F0A4: BEFE0114
	global_atomic_add_f32 v6, v115, s[8:9] offset:8            // 00000000F0A8: DD348008 00087306
	global_atomic_add_f32 v6, v119, s[8:9] offset:264          // 00000000F0B0: DD348108 00087706
	global_atomic_add_f32 v6, v123, s[8:9] offset:520          // 00000000F0B8: DD348208 00087B06
	global_atomic_add_f32 v6, v127, s[8:9] offset:776          // 00000000F0C0: DD348308 00087F06
	s_mov_b64 exec, s[36:37]                                   // 00000000F0C8: BEFE0124
	v_mov_b32_e32 v6, v56                                      // 00000000F0CC: 7E0C0338
	s_mov_b64 s[60:61], 0                                      // 00000000F0D0: BEBC0180
	v_readlane_b32 s82, v3, 16                                 // 00000000F0D4: D2890052 00012103
	s_and_b32 s82, s82, 0xffffff                               // 00000000F0DC: 8652FF52 00FFFFFF
	s_cmp_lt_u32 s82, s66                                      // 00000000F0E4: BF0A4252
	s_cselect_b32 s20, s36, s60                                // 00000000F0E8: 85143C24
	v_readlane_b32 s82, v3, 17                                 // 00000000F0EC: D2890052 00012303
	s_and_b32 s82, s82, 0xffffff                               // 00000000F0F4: 8652FF52 00FFFFFF
	s_cmp_lt_u32 s82, s66                                      // 00000000F0FC: BF0A4252
	s_cselect_b32 s21, s36, s60                                // 00000000F100: 85153C24
	s_mov_b64 exec, s[20:21]                                   // 00000000F104: BEFE0114
	global_atomic_add_f32 v6, v130, s[8:9] offset:8            // 00000000F108: DD348008 00088206
	global_atomic_add_f32 v6, v134, s[8:9] offset:264          // 00000000F110: DD348108 00088606
	global_atomic_add_f32 v6, v138, s[8:9] offset:520          // 00000000F118: DD348208 00088A06
	global_atomic_add_f32 v6, v142, s[8:9] offset:776          // 00000000F120: DD348308 00088E06
	s_mov_b64 exec, s[36:37]                                   // 00000000F128: BEFE0124
	v_mov_b32_e32 v6, v57                                      // 00000000F12C: 7E0C0339
	s_mov_b64 s[60:61], 0                                      // 00000000F130: BEBC0180
	v_readlane_b32 s82, v3, 18                                 // 00000000F134: D2890052 00012503
	s_and_b32 s82, s82, 0xffffff                               // 00000000F13C: 8652FF52 00FFFFFF
	s_cmp_lt_u32 s82, s66                                      // 00000000F144: BF0A4252
	s_cselect_b32 s20, s36, s60                                // 00000000F148: 85143C24
	v_readlane_b32 s82, v3, 19                                 // 00000000F14C: D2890052 00012703
	s_and_b32 s82, s82, 0xffffff                               // 00000000F154: 8652FF52 00FFFFFF
	s_cmp_lt_u32 s82, s66                                      // 00000000F15C: BF0A4252
	s_cselect_b32 s21, s36, s60                                // 00000000F160: 85153C24
	s_mov_b64 exec, s[20:21]                                   // 00000000F164: BEFE0114
	global_atomic_add_f32 v6, v131, s[8:9] offset:8            // 00000000F168: DD348008 00088306
	global_atomic_add_f32 v6, v135, s[8:9] offset:264          // 00000000F170: DD348108 00088706
	global_atomic_add_f32 v6, v139, s[8:9] offset:520          // 00000000F178: DD348208 00088B06
	global_atomic_add_f32 v6, v143, s[8:9] offset:776          // 00000000F180: DD348308 00088F06
	s_mov_b64 exec, s[36:37]                                   // 00000000F188: BEFE0124
	ds_write_b64 v20, v[144:145]                               // 00000000F18C: D89A0000 00009014
	ds_write_b64 v20, v[148:149] offset:8704                   // 00000000F194: D89A2200 00009414
	ds_write_b64 v20, v[152:153] offset:17408                  // 00000000F19C: D89A4400 00009814
	ds_write_b64 v20, v[156:157] offset:26112                  // 00000000F1A4: D89A6600 00009C14
	ds_write_b64 v20, v[160:161] offset:34816                  // 00000000F1AC: D89A8800 0000A014
	ds_write_b64 v20, v[164:165] offset:2176                   // 00000000F1B4: D89A0880 0000A414
	ds_write_b64 v20, v[168:169] offset:10880                  // 00000000F1BC: D89A2A80 0000A814
	ds_write_b64 v20, v[172:173] offset:19584                  // 00000000F1C4: D89A4C80 0000AC14
	ds_write_b64 v20, v[176:177] offset:28288                  // 00000000F1CC: D89A6E80 0000B014
	ds_write_b64 v20, v[180:181] offset:36992                  // 00000000F1D4: D89A9080 0000B414
	ds_write_b64 v20, v[184:185] offset:4352                   // 00000000F1DC: D89A1100 0000B814
	ds_write_b64 v20, v[188:189] offset:13056                  // 00000000F1E4: D89A3300 0000BC14
	ds_write_b64 v20, v[192:193] offset:21760                  // 00000000F1EC: D89A5500 0000C014
	ds_write_b64 v20, v[196:197] offset:30464                  // 00000000F1F4: D89A7700 0000C414
	ds_write_b64 v20, v[200:201] offset:39168                  // 00000000F1FC: D89A9900 0000C814
	ds_write_b64 v20, v[204:205] offset:6528                   // 00000000F204: D89A1980 0000CC14
	ds_write_b64 v20, v[208:209] offset:15232                  // 00000000F20C: D89A3B80 0000D014
	ds_write_b64 v20, v[212:213] offset:23936                  // 00000000F214: D89A5D80 0000D414
	ds_write_b64 v20, v[216:217] offset:32640                  // 00000000F21C: D89A7F80 0000D814
	ds_write_b64 v20, v[220:221] offset:41344                  // 00000000F224: D89AA180 0000DC14
	s_waitcnt lgkmcnt(0)                                       // 00000000F22C: BF8CC07F
	s_barrier                                                  // 00000000F230: BF8A0000
	ds_read_b32 v144, v21                                      // 00000000F234: D86C0000 90000015
	ds_read_b32 v145, v21 offset:64                            // 00000000F23C: D86C0040 91000015
	ds_read_b32 v148, v21 offset:2176                          // 00000000F244: D86C0880 94000015
	ds_read_b32 v149, v21 offset:2240                          // 00000000F24C: D86C08C0 95000015
	ds_read_b32 v152, v21 offset:4352                          // 00000000F254: D86C1100 98000015
	ds_read_b32 v153, v21 offset:4416                          // 00000000F25C: D86C1140 99000015
	ds_read_b32 v156, v21 offset:6528                          // 00000000F264: D86C1980 9C000015
	ds_read_b32 v157, v21 offset:6592                          // 00000000F26C: D86C19C0 9D000015
	ds_read_b32 v160, v21 offset:8704                          // 00000000F274: D86C2200 A0000015
	ds_read_b32 v161, v21 offset:8768                          // 00000000F27C: D86C2240 A1000015
	ds_read_b32 v164, v21 offset:10880                         // 00000000F284: D86C2A80 A4000015
	ds_read_b32 v165, v21 offset:10944                         // 00000000F28C: D86C2AC0 A5000015
	ds_read_b32 v168, v21 offset:13056                         // 00000000F294: D86C3300 A8000015
	ds_read_b32 v169, v21 offset:13120                         // 00000000F29C: D86C3340 A9000015
	ds_read_b32 v172, v21 offset:15232                         // 00000000F2A4: D86C3B80 AC000015
	ds_read_b32 v173, v21 offset:15296                         // 00000000F2AC: D86C3BC0 AD000015
	ds_read_b32 v176, v21 offset:17408                         // 00000000F2B4: D86C4400 B0000015
	ds_read_b32 v177, v21 offset:17472                         // 00000000F2BC: D86C4440 B1000015
	ds_read_b32 v180, v21 offset:19584                         // 00000000F2C4: D86C4C80 B4000015
	ds_read_b32 v181, v21 offset:19648                         // 00000000F2CC: D86C4CC0 B5000015
	ds_read_b32 v184, v21 offset:21760                         // 00000000F2D4: D86C5500 B8000015
	ds_read_b32 v185, v21 offset:21824                         // 00000000F2DC: D86C5540 B9000015
	ds_read_b32 v188, v21 offset:23936                         // 00000000F2E4: D86C5D80 BC000015
	ds_read_b32 v189, v21 offset:24000                         // 00000000F2EC: D86C5DC0 BD000015
	ds_read_b32 v192, v21 offset:26112                         // 00000000F2F4: D86C6600 C0000015
	ds_read_b32 v193, v21 offset:26176                         // 00000000F2FC: D86C6640 C1000015
	ds_read_b32 v196, v21 offset:28288                         // 00000000F304: D86C6E80 C4000015
	ds_read_b32 v197, v21 offset:28352                         // 00000000F30C: D86C6EC0 C5000015
	ds_read_b32 v200, v21 offset:30464                         // 00000000F314: D86C7700 C8000015
	ds_read_b32 v201, v21 offset:30528                         // 00000000F31C: D86C7740 C9000015
	ds_read_b32 v204, v21 offset:32640                         // 00000000F324: D86C7F80 CC000015
	ds_read_b32 v205, v21 offset:32704                         // 00000000F32C: D86C7FC0 CD000015
	ds_read_b32 v208, v21 offset:34816                         // 00000000F334: D86C8800 D0000015
	ds_read_b32 v209, v21 offset:34880                         // 00000000F33C: D86C8840 D1000015
	ds_read_b32 v212, v21 offset:36992                         // 00000000F344: D86C9080 D4000015
	ds_read_b32 v213, v21 offset:37056                         // 00000000F34C: D86C90C0 D5000015
	ds_read_b32 v216, v21 offset:39168                         // 00000000F354: D86C9900 D8000015
	ds_read_b32 v217, v21 offset:39232                         // 00000000F35C: D86C9940 D9000015
	ds_read_b32 v220, v21 offset:41344                         // 00000000F364: D86CA180 DC000015
	ds_read_b32 v221, v21 offset:41408                         // 00000000F36C: D86CA1C0 DD000015
	s_mul_i32 s60, s65, 4                                      // 00000000F374: 923C8441
	s_add_u32 s8, s60, s8                                      // 00000000F378: 8008083C
	s_addc_u32 s9, 0, s9                                       // 00000000F37C: 82090980
	s_waitcnt lgkmcnt(0)                                       // 00000000F380: BF8CC07F
	v_mov_b32_e32 v7, 0                                        // 00000000F384: 7E0E0280
	s_mov_b64 exec, s[36:37]                                   // 00000000F388: BEFE0124
	v_mov_b32_e32 v6, v48                                      // 00000000F38C: 7E0C0330
	s_mov_b64 s[60:61], 0                                      // 00000000F390: BEBC0180
	v_readlane_b32 s82, v3, 0                                  // 00000000F394: D2890052 00010103
	s_and_b32 s82, s82, 0xffffff                               // 00000000F39C: 8652FF52 00FFFFFF
	s_cmp_lt_u32 s82, s66                                      // 00000000F3A4: BF0A4252
	s_cselect_b32 s20, s36, s60                                // 00000000F3A8: 85143C24
	v_readlane_b32 s82, v3, 1                                  // 00000000F3AC: D2890052 00010303
	s_and_b32 s82, s82, 0xffffff                               // 00000000F3B4: 8652FF52 00FFFFFF
	s_cmp_lt_u32 s82, s66                                      // 00000000F3BC: BF0A4252
	s_cselect_b32 s21, s36, s60                                // 00000000F3C0: 85153C24
	s_mov_b64 exec, s[20:21]                                   // 00000000F3C4: BEFE0114
	global_atomic_add_f32 v6, v144, s[8:9]                     // 00000000F3C8: DD348000 00089006
	global_atomic_add_f32 v6, v148, s[8:9] offset:256          // 00000000F3D0: DD348100 00089406
	global_atomic_add_f32 v6, v152, s[8:9] offset:512          // 00000000F3D8: DD348200 00089806
	global_atomic_add_f32 v6, v156, s[8:9] offset:768          // 00000000F3E0: DD348300 00089C06
	s_mov_b64 exec, s[36:37]                                   // 00000000F3E8: BEFE0124
	v_mov_b32_e32 v6, v49                                      // 00000000F3EC: 7E0C0331
	s_mov_b64 s[60:61], 0                                      // 00000000F3F0: BEBC0180
	v_readlane_b32 s82, v3, 2                                  // 00000000F3F4: D2890052 00010503
	s_and_b32 s82, s82, 0xffffff                               // 00000000F3FC: 8652FF52 00FFFFFF
	s_cmp_lt_u32 s82, s66                                      // 00000000F404: BF0A4252
	s_cselect_b32 s20, s36, s60                                // 00000000F408: 85143C24
	v_readlane_b32 s82, v3, 3                                  // 00000000F40C: D2890052 00010703
	s_and_b32 s82, s82, 0xffffff                               // 00000000F414: 8652FF52 00FFFFFF
	s_cmp_lt_u32 s82, s66                                      // 00000000F41C: BF0A4252
	s_cselect_b32 s21, s36, s60                                // 00000000F420: 85153C24
	s_mov_b64 exec, s[20:21]                                   // 00000000F424: BEFE0114
	global_atomic_add_f32 v6, v145, s[8:9]                     // 00000000F428: DD348000 00089106
	global_atomic_add_f32 v6, v149, s[8:9] offset:256          // 00000000F430: DD348100 00089506
	global_atomic_add_f32 v6, v153, s[8:9] offset:512          // 00000000F438: DD348200 00089906
	global_atomic_add_f32 v6, v157, s[8:9] offset:768          // 00000000F440: DD348300 00089D06
	s_mov_b64 exec, s[36:37]                                   // 00000000F448: BEFE0124
	v_mov_b32_e32 v6, v50                                      // 00000000F44C: 7E0C0332
	s_mov_b64 s[60:61], 0                                      // 00000000F450: BEBC0180
	v_readlane_b32 s82, v3, 4                                  // 00000000F454: D2890052 00010903
	s_and_b32 s82, s82, 0xffffff                               // 00000000F45C: 8652FF52 00FFFFFF
	s_cmp_lt_u32 s82, s66                                      // 00000000F464: BF0A4252
	s_cselect_b32 s20, s36, s60                                // 00000000F468: 85143C24
	v_readlane_b32 s82, v3, 5                                  // 00000000F46C: D2890052 00010B03
	s_and_b32 s82, s82, 0xffffff                               // 00000000F474: 8652FF52 00FFFFFF
	s_cmp_lt_u32 s82, s66                                      // 00000000F47C: BF0A4252
	s_cselect_b32 s21, s36, s60                                // 00000000F480: 85153C24
	s_mov_b64 exec, s[20:21]                                   // 00000000F484: BEFE0114
	global_atomic_add_f32 v6, v160, s[8:9]                     // 00000000F488: DD348000 0008A006
	global_atomic_add_f32 v6, v164, s[8:9] offset:256          // 00000000F490: DD348100 0008A406
	global_atomic_add_f32 v6, v168, s[8:9] offset:512          // 00000000F498: DD348200 0008A806
	global_atomic_add_f32 v6, v172, s[8:9] offset:768          // 00000000F4A0: DD348300 0008AC06
	s_mov_b64 exec, s[36:37]                                   // 00000000F4A8: BEFE0124
	v_mov_b32_e32 v6, v51                                      // 00000000F4AC: 7E0C0333
	s_mov_b64 s[60:61], 0                                      // 00000000F4B0: BEBC0180
	v_readlane_b32 s82, v3, 6                                  // 00000000F4B4: D2890052 00010D03
	s_and_b32 s82, s82, 0xffffff                               // 00000000F4BC: 8652FF52 00FFFFFF
	s_cmp_lt_u32 s82, s66                                      // 00000000F4C4: BF0A4252
	s_cselect_b32 s20, s36, s60                                // 00000000F4C8: 85143C24
	v_readlane_b32 s82, v3, 7                                  // 00000000F4CC: D2890052 00010F03
	s_and_b32 s82, s82, 0xffffff                               // 00000000F4D4: 8652FF52 00FFFFFF
	s_cmp_lt_u32 s82, s66                                      // 00000000F4DC: BF0A4252
	s_cselect_b32 s21, s36, s60                                // 00000000F4E0: 85153C24
	s_mov_b64 exec, s[20:21]                                   // 00000000F4E4: BEFE0114
	global_atomic_add_f32 v6, v161, s[8:9]                     // 00000000F4E8: DD348000 0008A106
	global_atomic_add_f32 v6, v165, s[8:9] offset:256          // 00000000F4F0: DD348100 0008A506
	global_atomic_add_f32 v6, v169, s[8:9] offset:512          // 00000000F4F8: DD348200 0008A906
	global_atomic_add_f32 v6, v173, s[8:9] offset:768          // 00000000F500: DD348300 0008AD06
	s_mov_b64 exec, s[36:37]                                   // 00000000F508: BEFE0124
	v_mov_b32_e32 v6, v52                                      // 00000000F50C: 7E0C0334
	s_mov_b64 s[60:61], 0                                      // 00000000F510: BEBC0180
	v_readlane_b32 s82, v3, 8                                  // 00000000F514: D2890052 00011103
	s_and_b32 s82, s82, 0xffffff                               // 00000000F51C: 8652FF52 00FFFFFF
	s_cmp_lt_u32 s82, s66                                      // 00000000F524: BF0A4252
	s_cselect_b32 s20, s36, s60                                // 00000000F528: 85143C24
	v_readlane_b32 s82, v3, 9                                  // 00000000F52C: D2890052 00011303
	s_and_b32 s82, s82, 0xffffff                               // 00000000F534: 8652FF52 00FFFFFF
	s_cmp_lt_u32 s82, s66                                      // 00000000F53C: BF0A4252
	s_cselect_b32 s21, s36, s60                                // 00000000F540: 85153C24
	s_mov_b64 exec, s[20:21]                                   // 00000000F544: BEFE0114
	global_atomic_add_f32 v6, v176, s[8:9]                     // 00000000F548: DD348000 0008B006
	global_atomic_add_f32 v6, v180, s[8:9] offset:256          // 00000000F550: DD348100 0008B406
	global_atomic_add_f32 v6, v184, s[8:9] offset:512          // 00000000F558: DD348200 0008B806
	global_atomic_add_f32 v6, v188, s[8:9] offset:768          // 00000000F560: DD348300 0008BC06
	s_mov_b64 exec, s[36:37]                                   // 00000000F568: BEFE0124
	v_mov_b32_e32 v6, v53                                      // 00000000F56C: 7E0C0335
	s_mov_b64 s[60:61], 0                                      // 00000000F570: BEBC0180
	v_readlane_b32 s82, v3, 10                                 // 00000000F574: D2890052 00011503
	s_and_b32 s82, s82, 0xffffff                               // 00000000F57C: 8652FF52 00FFFFFF
	s_cmp_lt_u32 s82, s66                                      // 00000000F584: BF0A4252
	s_cselect_b32 s20, s36, s60                                // 00000000F588: 85143C24
	v_readlane_b32 s82, v3, 11                                 // 00000000F58C: D2890052 00011703
	s_and_b32 s82, s82, 0xffffff                               // 00000000F594: 8652FF52 00FFFFFF
	s_cmp_lt_u32 s82, s66                                      // 00000000F59C: BF0A4252
	s_cselect_b32 s21, s36, s60                                // 00000000F5A0: 85153C24
	s_mov_b64 exec, s[20:21]                                   // 00000000F5A4: BEFE0114
	global_atomic_add_f32 v6, v177, s[8:9]                     // 00000000F5A8: DD348000 0008B106
	global_atomic_add_f32 v6, v181, s[8:9] offset:256          // 00000000F5B0: DD348100 0008B506
	global_atomic_add_f32 v6, v185, s[8:9] offset:512          // 00000000F5B8: DD348200 0008B906
	global_atomic_add_f32 v6, v189, s[8:9] offset:768          // 00000000F5C0: DD348300 0008BD06
	s_mov_b64 exec, s[36:37]                                   // 00000000F5C8: BEFE0124
	v_mov_b32_e32 v6, v54                                      // 00000000F5CC: 7E0C0336
	s_mov_b64 s[60:61], 0                                      // 00000000F5D0: BEBC0180
	v_readlane_b32 s82, v3, 12                                 // 00000000F5D4: D2890052 00011903
	s_and_b32 s82, s82, 0xffffff                               // 00000000F5DC: 8652FF52 00FFFFFF
	s_cmp_lt_u32 s82, s66                                      // 00000000F5E4: BF0A4252
	s_cselect_b32 s20, s36, s60                                // 00000000F5E8: 85143C24
	v_readlane_b32 s82, v3, 13                                 // 00000000F5EC: D2890052 00011B03
	s_and_b32 s82, s82, 0xffffff                               // 00000000F5F4: 8652FF52 00FFFFFF
	s_cmp_lt_u32 s82, s66                                      // 00000000F5FC: BF0A4252
	s_cselect_b32 s21, s36, s60                                // 00000000F600: 85153C24
	s_mov_b64 exec, s[20:21]                                   // 00000000F604: BEFE0114
	global_atomic_add_f32 v6, v192, s[8:9]                     // 00000000F608: DD348000 0008C006
	global_atomic_add_f32 v6, v196, s[8:9] offset:256          // 00000000F610: DD348100 0008C406
	global_atomic_add_f32 v6, v200, s[8:9] offset:512          // 00000000F618: DD348200 0008C806
	global_atomic_add_f32 v6, v204, s[8:9] offset:768          // 00000000F620: DD348300 0008CC06
	s_mov_b64 exec, s[36:37]                                   // 00000000F628: BEFE0124
	v_mov_b32_e32 v6, v55                                      // 00000000F62C: 7E0C0337
	s_mov_b64 s[60:61], 0                                      // 00000000F630: BEBC0180
	v_readlane_b32 s82, v3, 14                                 // 00000000F634: D2890052 00011D03
	s_and_b32 s82, s82, 0xffffff                               // 00000000F63C: 8652FF52 00FFFFFF
	s_cmp_lt_u32 s82, s66                                      // 00000000F644: BF0A4252
	s_cselect_b32 s20, s36, s60                                // 00000000F648: 85143C24
	v_readlane_b32 s82, v3, 15                                 // 00000000F64C: D2890052 00011F03
	s_and_b32 s82, s82, 0xffffff                               // 00000000F654: 8652FF52 00FFFFFF
	s_cmp_lt_u32 s82, s66                                      // 00000000F65C: BF0A4252
	s_cselect_b32 s21, s36, s60                                // 00000000F660: 85153C24
	s_mov_b64 exec, s[20:21]                                   // 00000000F664: BEFE0114
	global_atomic_add_f32 v6, v193, s[8:9]                     // 00000000F668: DD348000 0008C106
	global_atomic_add_f32 v6, v197, s[8:9] offset:256          // 00000000F670: DD348100 0008C506
	global_atomic_add_f32 v6, v201, s[8:9] offset:512          // 00000000F678: DD348200 0008C906
	global_atomic_add_f32 v6, v205, s[8:9] offset:768          // 00000000F680: DD348300 0008CD06
	s_mov_b64 exec, s[36:37]                                   // 00000000F688: BEFE0124
	v_mov_b32_e32 v6, v56                                      // 00000000F68C: 7E0C0338
	s_mov_b64 s[60:61], 0                                      // 00000000F690: BEBC0180
	v_readlane_b32 s82, v3, 16                                 // 00000000F694: D2890052 00012103
	s_and_b32 s82, s82, 0xffffff                               // 00000000F69C: 8652FF52 00FFFFFF
	s_cmp_lt_u32 s82, s66                                      // 00000000F6A4: BF0A4252
	s_cselect_b32 s20, s36, s60                                // 00000000F6A8: 85143C24
	v_readlane_b32 s82, v3, 17                                 // 00000000F6AC: D2890052 00012303
	s_and_b32 s82, s82, 0xffffff                               // 00000000F6B4: 8652FF52 00FFFFFF
	s_cmp_lt_u32 s82, s66                                      // 00000000F6BC: BF0A4252
	s_cselect_b32 s21, s36, s60                                // 00000000F6C0: 85153C24
	s_mov_b64 exec, s[20:21]                                   // 00000000F6C4: BEFE0114
	global_atomic_add_f32 v6, v208, s[8:9]                     // 00000000F6C8: DD348000 0008D006
	global_atomic_add_f32 v6, v212, s[8:9] offset:256          // 00000000F6D0: DD348100 0008D406
	global_atomic_add_f32 v6, v216, s[8:9] offset:512          // 00000000F6D8: DD348200 0008D806
	global_atomic_add_f32 v6, v220, s[8:9] offset:768          // 00000000F6E0: DD348300 0008DC06
	s_mov_b64 exec, s[36:37]                                   // 00000000F6E8: BEFE0124
	v_mov_b32_e32 v6, v57                                      // 00000000F6EC: 7E0C0339
	s_mov_b64 s[60:61], 0                                      // 00000000F6F0: BEBC0180
	v_readlane_b32 s82, v3, 18                                 // 00000000F6F4: D2890052 00012503
	s_and_b32 s82, s82, 0xffffff                               // 00000000F6FC: 8652FF52 00FFFFFF
	s_cmp_lt_u32 s82, s66                                      // 00000000F704: BF0A4252
	s_cselect_b32 s20, s36, s60                                // 00000000F708: 85143C24
	v_readlane_b32 s82, v3, 19                                 // 00000000F70C: D2890052 00012703
	s_and_b32 s82, s82, 0xffffff                               // 00000000F714: 8652FF52 00FFFFFF
	s_cmp_lt_u32 s82, s66                                      // 00000000F71C: BF0A4252
	s_cselect_b32 s21, s36, s60                                // 00000000F720: 85153C24
	s_mov_b64 exec, s[20:21]                                   // 00000000F724: BEFE0114
	global_atomic_add_f32 v6, v209, s[8:9]                     // 00000000F728: DD348000 0008D106
	global_atomic_add_f32 v6, v213, s[8:9] offset:256          // 00000000F730: DD348100 0008D506
	global_atomic_add_f32 v6, v217, s[8:9] offset:512          // 00000000F738: DD348200 0008D906
	global_atomic_add_f32 v6, v221, s[8:9] offset:768          // 00000000F740: DD348300 0008DD06
	s_mov_b64 exec, s[36:37]                                   // 00000000F748: BEFE0124
	ds_write_b64 v20, v[146:147]                               // 00000000F74C: D89A0000 00009214
	ds_write_b64 v20, v[150:151] offset:8704                   // 00000000F754: D89A2200 00009614
	ds_write_b64 v20, v[154:155] offset:17408                  // 00000000F75C: D89A4400 00009A14
	ds_write_b64 v20, v[158:159] offset:26112                  // 00000000F764: D89A6600 00009E14
	ds_write_b64 v20, v[162:163] offset:34816                  // 00000000F76C: D89A8800 0000A214
	ds_write_b64 v20, v[166:167] offset:2176                   // 00000000F774: D89A0880 0000A614
	ds_write_b64 v20, v[170:171] offset:10880                  // 00000000F77C: D89A2A80 0000AA14
	ds_write_b64 v20, v[174:175] offset:19584                  // 00000000F784: D89A4C80 0000AE14
	ds_write_b64 v20, v[178:179] offset:28288                  // 00000000F78C: D89A6E80 0000B214
	ds_write_b64 v20, v[182:183] offset:36992                  // 00000000F794: D89A9080 0000B614
	ds_write_b64 v20, v[186:187] offset:4352                   // 00000000F79C: D89A1100 0000BA14
	ds_write_b64 v20, v[190:191] offset:13056                  // 00000000F7A4: D89A3300 0000BE14
	ds_write_b64 v20, v[194:195] offset:21760                  // 00000000F7AC: D89A5500 0000C214
	ds_write_b64 v20, v[198:199] offset:30464                  // 00000000F7B4: D89A7700 0000C614
	ds_write_b64 v20, v[202:203] offset:39168                  // 00000000F7BC: D89A9900 0000CA14
	ds_write_b64 v20, v[206:207] offset:6528                   // 00000000F7C4: D89A1980 0000CE14
	ds_write_b64 v20, v[210:211] offset:15232                  // 00000000F7CC: D89A3B80 0000D214
	ds_write_b64 v20, v[214:215] offset:23936                  // 00000000F7D4: D89A5D80 0000D614
	ds_write_b64 v20, v[218:219] offset:32640                  // 00000000F7DC: D89A7F80 0000DA14
	ds_write_b64 v20, v[222:223] offset:41344                  // 00000000F7E4: D89AA180 0000DE14
	s_waitcnt lgkmcnt(0)                                       // 00000000F7EC: BF8CC07F
	s_barrier                                                  // 00000000F7F0: BF8A0000
	ds_read_b32 v146, v21                                      // 00000000F7F4: D86C0000 92000015
	ds_read_b32 v147, v21 offset:64                            // 00000000F7FC: D86C0040 93000015
	ds_read_b32 v150, v21 offset:2176                          // 00000000F804: D86C0880 96000015
	ds_read_b32 v151, v21 offset:2240                          // 00000000F80C: D86C08C0 97000015
	ds_read_b32 v154, v21 offset:4352                          // 00000000F814: D86C1100 9A000015
	ds_read_b32 v155, v21 offset:4416                          // 00000000F81C: D86C1140 9B000015
	ds_read_b32 v158, v21 offset:6528                          // 00000000F824: D86C1980 9E000015
	ds_read_b32 v159, v21 offset:6592                          // 00000000F82C: D86C19C0 9F000015
	ds_read_b32 v162, v21 offset:8704                          // 00000000F834: D86C2200 A2000015
	ds_read_b32 v163, v21 offset:8768                          // 00000000F83C: D86C2240 A3000015
	ds_read_b32 v166, v21 offset:10880                         // 00000000F844: D86C2A80 A6000015
	ds_read_b32 v167, v21 offset:10944                         // 00000000F84C: D86C2AC0 A7000015
	ds_read_b32 v170, v21 offset:13056                         // 00000000F854: D86C3300 AA000015
	ds_read_b32 v171, v21 offset:13120                         // 00000000F85C: D86C3340 AB000015
	ds_read_b32 v174, v21 offset:15232                         // 00000000F864: D86C3B80 AE000015
	ds_read_b32 v175, v21 offset:15296                         // 00000000F86C: D86C3BC0 AF000015
	ds_read_b32 v178, v21 offset:17408                         // 00000000F874: D86C4400 B2000015
	ds_read_b32 v179, v21 offset:17472                         // 00000000F87C: D86C4440 B3000015
	ds_read_b32 v182, v21 offset:19584                         // 00000000F884: D86C4C80 B6000015
	ds_read_b32 v183, v21 offset:19648                         // 00000000F88C: D86C4CC0 B7000015
	ds_read_b32 v186, v21 offset:21760                         // 00000000F894: D86C5500 BA000015
	ds_read_b32 v187, v21 offset:21824                         // 00000000F89C: D86C5540 BB000015
	ds_read_b32 v190, v21 offset:23936                         // 00000000F8A4: D86C5D80 BE000015
	ds_read_b32 v191, v21 offset:24000                         // 00000000F8AC: D86C5DC0 BF000015
	ds_read_b32 v194, v21 offset:26112                         // 00000000F8B4: D86C6600 C2000015
	ds_read_b32 v195, v21 offset:26176                         // 00000000F8BC: D86C6640 C3000015
	ds_read_b32 v198, v21 offset:28288                         // 00000000F8C4: D86C6E80 C6000015
	ds_read_b32 v199, v21 offset:28352                         // 00000000F8CC: D86C6EC0 C7000015
	ds_read_b32 v202, v21 offset:30464                         // 00000000F8D4: D86C7700 CA000015
	ds_read_b32 v203, v21 offset:30528                         // 00000000F8DC: D86C7740 CB000015
	ds_read_b32 v206, v21 offset:32640                         // 00000000F8E4: D86C7F80 CE000015
	ds_read_b32 v207, v21 offset:32704                         // 00000000F8EC: D86C7FC0 CF000015
	ds_read_b32 v210, v21 offset:34816                         // 00000000F8F4: D86C8800 D2000015
	ds_read_b32 v211, v21 offset:34880                         // 00000000F8FC: D86C8840 D3000015
	ds_read_b32 v214, v21 offset:36992                         // 00000000F904: D86C9080 D6000015
	ds_read_b32 v215, v21 offset:37056                         // 00000000F90C: D86C90C0 D7000015
	ds_read_b32 v218, v21 offset:39168                         // 00000000F914: D86C9900 DA000015
	ds_read_b32 v219, v21 offset:39232                         // 00000000F91C: D86C9940 DB000015
	ds_read_b32 v222, v21 offset:41344                         // 00000000F924: D86CA180 DE000015
	ds_read_b32 v223, v21 offset:41408                         // 00000000F92C: D86CA1C0 DF000015
	s_waitcnt lgkmcnt(0)                                       // 00000000F934: BF8CC07F
	v_mov_b32_e32 v7, 0                                        // 00000000F938: 7E0E0280
	s_mov_b64 exec, s[36:37]                                   // 00000000F93C: BEFE0124
	v_mov_b32_e32 v6, v48                                      // 00000000F940: 7E0C0330
	s_mov_b64 s[60:61], 0                                      // 00000000F944: BEBC0180
	v_readlane_b32 s82, v3, 0                                  // 00000000F948: D2890052 00010103
	s_and_b32 s82, s82, 0xffffff                               // 00000000F950: 8652FF52 00FFFFFF
	s_cmp_lt_u32 s82, s66                                      // 00000000F958: BF0A4252
	s_cselect_b32 s20, s36, s60                                // 00000000F95C: 85143C24
	v_readlane_b32 s82, v3, 1                                  // 00000000F960: D2890052 00010303
	s_and_b32 s82, s82, 0xffffff                               // 00000000F968: 8652FF52 00FFFFFF
	s_cmp_lt_u32 s82, s66                                      // 00000000F970: BF0A4252
	s_cselect_b32 s21, s36, s60                                // 00000000F974: 85153C24
	s_mov_b64 exec, s[20:21]                                   // 00000000F978: BEFE0114
	global_atomic_add_f32 v6, v146, s[8:9] offset:8            // 00000000F97C: DD348008 00089206
	global_atomic_add_f32 v6, v150, s[8:9] offset:264          // 00000000F984: DD348108 00089606
	global_atomic_add_f32 v6, v154, s[8:9] offset:520          // 00000000F98C: DD348208 00089A06
	global_atomic_add_f32 v6, v158, s[8:9] offset:776          // 00000000F994: DD348308 00089E06
	s_mov_b64 exec, s[36:37]                                   // 00000000F99C: BEFE0124
	v_mov_b32_e32 v6, v49                                      // 00000000F9A0: 7E0C0331
	s_mov_b64 s[60:61], 0                                      // 00000000F9A4: BEBC0180
	v_readlane_b32 s82, v3, 2                                  // 00000000F9A8: D2890052 00010503
	s_and_b32 s82, s82, 0xffffff                               // 00000000F9B0: 8652FF52 00FFFFFF
	s_cmp_lt_u32 s82, s66                                      // 00000000F9B8: BF0A4252
	s_cselect_b32 s20, s36, s60                                // 00000000F9BC: 85143C24
	v_readlane_b32 s82, v3, 3                                  // 00000000F9C0: D2890052 00010703
	s_and_b32 s82, s82, 0xffffff                               // 00000000F9C8: 8652FF52 00FFFFFF
	s_cmp_lt_u32 s82, s66                                      // 00000000F9D0: BF0A4252
	s_cselect_b32 s21, s36, s60                                // 00000000F9D4: 85153C24
	s_mov_b64 exec, s[20:21]                                   // 00000000F9D8: BEFE0114
	global_atomic_add_f32 v6, v147, s[8:9] offset:8            // 00000000F9DC: DD348008 00089306
	global_atomic_add_f32 v6, v151, s[8:9] offset:264          // 00000000F9E4: DD348108 00089706
	global_atomic_add_f32 v6, v155, s[8:9] offset:520          // 00000000F9EC: DD348208 00089B06
	global_atomic_add_f32 v6, v159, s[8:9] offset:776          // 00000000F9F4: DD348308 00089F06
	s_mov_b64 exec, s[36:37]                                   // 00000000F9FC: BEFE0124
	v_mov_b32_e32 v6, v50                                      // 00000000FA00: 7E0C0332
	s_mov_b64 s[60:61], 0                                      // 00000000FA04: BEBC0180
	v_readlane_b32 s82, v3, 4                                  // 00000000FA08: D2890052 00010903
	s_and_b32 s82, s82, 0xffffff                               // 00000000FA10: 8652FF52 00FFFFFF
	s_cmp_lt_u32 s82, s66                                      // 00000000FA18: BF0A4252
	s_cselect_b32 s20, s36, s60                                // 00000000FA1C: 85143C24
	v_readlane_b32 s82, v3, 5                                  // 00000000FA20: D2890052 00010B03
	s_and_b32 s82, s82, 0xffffff                               // 00000000FA28: 8652FF52 00FFFFFF
	s_cmp_lt_u32 s82, s66                                      // 00000000FA30: BF0A4252
	s_cselect_b32 s21, s36, s60                                // 00000000FA34: 85153C24
	s_mov_b64 exec, s[20:21]                                   // 00000000FA38: BEFE0114
	global_atomic_add_f32 v6, v162, s[8:9] offset:8            // 00000000FA3C: DD348008 0008A206
	global_atomic_add_f32 v6, v166, s[8:9] offset:264          // 00000000FA44: DD348108 0008A606
	global_atomic_add_f32 v6, v170, s[8:9] offset:520          // 00000000FA4C: DD348208 0008AA06
	global_atomic_add_f32 v6, v174, s[8:9] offset:776          // 00000000FA54: DD348308 0008AE06
	s_mov_b64 exec, s[36:37]                                   // 00000000FA5C: BEFE0124
	v_mov_b32_e32 v6, v51                                      // 00000000FA60: 7E0C0333
	s_mov_b64 s[60:61], 0                                      // 00000000FA64: BEBC0180
	v_readlane_b32 s82, v3, 6                                  // 00000000FA68: D2890052 00010D03
	s_and_b32 s82, s82, 0xffffff                               // 00000000FA70: 8652FF52 00FFFFFF
	s_cmp_lt_u32 s82, s66                                      // 00000000FA78: BF0A4252
	s_cselect_b32 s20, s36, s60                                // 00000000FA7C: 85143C24
	v_readlane_b32 s82, v3, 7                                  // 00000000FA80: D2890052 00010F03
	s_and_b32 s82, s82, 0xffffff                               // 00000000FA88: 8652FF52 00FFFFFF
	s_cmp_lt_u32 s82, s66                                      // 00000000FA90: BF0A4252
	s_cselect_b32 s21, s36, s60                                // 00000000FA94: 85153C24
	s_mov_b64 exec, s[20:21]                                   // 00000000FA98: BEFE0114
	global_atomic_add_f32 v6, v163, s[8:9] offset:8            // 00000000FA9C: DD348008 0008A306
	global_atomic_add_f32 v6, v167, s[8:9] offset:264          // 00000000FAA4: DD348108 0008A706
	global_atomic_add_f32 v6, v171, s[8:9] offset:520          // 00000000FAAC: DD348208 0008AB06
	global_atomic_add_f32 v6, v175, s[8:9] offset:776          // 00000000FAB4: DD348308 0008AF06
	s_mov_b64 exec, s[36:37]                                   // 00000000FABC: BEFE0124
	v_mov_b32_e32 v6, v52                                      // 00000000FAC0: 7E0C0334
	s_mov_b64 s[60:61], 0                                      // 00000000FAC4: BEBC0180
	v_readlane_b32 s82, v3, 8                                  // 00000000FAC8: D2890052 00011103
	s_and_b32 s82, s82, 0xffffff                               // 00000000FAD0: 8652FF52 00FFFFFF
	s_cmp_lt_u32 s82, s66                                      // 00000000FAD8: BF0A4252
	s_cselect_b32 s20, s36, s60                                // 00000000FADC: 85143C24
	v_readlane_b32 s82, v3, 9                                  // 00000000FAE0: D2890052 00011303
	s_and_b32 s82, s82, 0xffffff                               // 00000000FAE8: 8652FF52 00FFFFFF
	s_cmp_lt_u32 s82, s66                                      // 00000000FAF0: BF0A4252
	s_cselect_b32 s21, s36, s60                                // 00000000FAF4: 85153C24
	s_mov_b64 exec, s[20:21]                                   // 00000000FAF8: BEFE0114
	global_atomic_add_f32 v6, v178, s[8:9] offset:8            // 00000000FAFC: DD348008 0008B206
	global_atomic_add_f32 v6, v182, s[8:9] offset:264          // 00000000FB04: DD348108 0008B606
	global_atomic_add_f32 v6, v186, s[8:9] offset:520          // 00000000FB0C: DD348208 0008BA06
	global_atomic_add_f32 v6, v190, s[8:9] offset:776          // 00000000FB14: DD348308 0008BE06
	s_mov_b64 exec, s[36:37]                                   // 00000000FB1C: BEFE0124
	v_mov_b32_e32 v6, v53                                      // 00000000FB20: 7E0C0335
	s_mov_b64 s[60:61], 0                                      // 00000000FB24: BEBC0180
	v_readlane_b32 s82, v3, 10                                 // 00000000FB28: D2890052 00011503
	s_and_b32 s82, s82, 0xffffff                               // 00000000FB30: 8652FF52 00FFFFFF
	s_cmp_lt_u32 s82, s66                                      // 00000000FB38: BF0A4252
	s_cselect_b32 s20, s36, s60                                // 00000000FB3C: 85143C24
	v_readlane_b32 s82, v3, 11                                 // 00000000FB40: D2890052 00011703
	s_and_b32 s82, s82, 0xffffff                               // 00000000FB48: 8652FF52 00FFFFFF
	s_cmp_lt_u32 s82, s66                                      // 00000000FB50: BF0A4252
	s_cselect_b32 s21, s36, s60                                // 00000000FB54: 85153C24
	s_mov_b64 exec, s[20:21]                                   // 00000000FB58: BEFE0114
	global_atomic_add_f32 v6, v179, s[8:9] offset:8            // 00000000FB5C: DD348008 0008B306
	global_atomic_add_f32 v6, v183, s[8:9] offset:264          // 00000000FB64: DD348108 0008B706
	global_atomic_add_f32 v6, v187, s[8:9] offset:520          // 00000000FB6C: DD348208 0008BB06
	global_atomic_add_f32 v6, v191, s[8:9] offset:776          // 00000000FB74: DD348308 0008BF06
	s_mov_b64 exec, s[36:37]                                   // 00000000FB7C: BEFE0124
	v_mov_b32_e32 v6, v54                                      // 00000000FB80: 7E0C0336
	s_mov_b64 s[60:61], 0                                      // 00000000FB84: BEBC0180
	v_readlane_b32 s82, v3, 12                                 // 00000000FB88: D2890052 00011903
	s_and_b32 s82, s82, 0xffffff                               // 00000000FB90: 8652FF52 00FFFFFF
	s_cmp_lt_u32 s82, s66                                      // 00000000FB98: BF0A4252
	s_cselect_b32 s20, s36, s60                                // 00000000FB9C: 85143C24
	v_readlane_b32 s82, v3, 13                                 // 00000000FBA0: D2890052 00011B03
	s_and_b32 s82, s82, 0xffffff                               // 00000000FBA8: 8652FF52 00FFFFFF
	s_cmp_lt_u32 s82, s66                                      // 00000000FBB0: BF0A4252
	s_cselect_b32 s21, s36, s60                                // 00000000FBB4: 85153C24
	s_mov_b64 exec, s[20:21]                                   // 00000000FBB8: BEFE0114
	global_atomic_add_f32 v6, v194, s[8:9] offset:8            // 00000000FBBC: DD348008 0008C206
	global_atomic_add_f32 v6, v198, s[8:9] offset:264          // 00000000FBC4: DD348108 0008C606
	global_atomic_add_f32 v6, v202, s[8:9] offset:520          // 00000000FBCC: DD348208 0008CA06
	global_atomic_add_f32 v6, v206, s[8:9] offset:776          // 00000000FBD4: DD348308 0008CE06
	s_mov_b64 exec, s[36:37]                                   // 00000000FBDC: BEFE0124
	v_mov_b32_e32 v6, v55                                      // 00000000FBE0: 7E0C0337
	s_mov_b64 s[60:61], 0                                      // 00000000FBE4: BEBC0180
	v_readlane_b32 s82, v3, 14                                 // 00000000FBE8: D2890052 00011D03
	s_and_b32 s82, s82, 0xffffff                               // 00000000FBF0: 8652FF52 00FFFFFF
	s_cmp_lt_u32 s82, s66                                      // 00000000FBF8: BF0A4252
	s_cselect_b32 s20, s36, s60                                // 00000000FBFC: 85143C24
	v_readlane_b32 s82, v3, 15                                 // 00000000FC00: D2890052 00011F03
	s_and_b32 s82, s82, 0xffffff                               // 00000000FC08: 8652FF52 00FFFFFF
	s_cmp_lt_u32 s82, s66                                      // 00000000FC10: BF0A4252
	s_cselect_b32 s21, s36, s60                                // 00000000FC14: 85153C24
	s_mov_b64 exec, s[20:21]                                   // 00000000FC18: BEFE0114
	global_atomic_add_f32 v6, v195, s[8:9] offset:8            // 00000000FC1C: DD348008 0008C306
	global_atomic_add_f32 v6, v199, s[8:9] offset:264          // 00000000FC24: DD348108 0008C706
	global_atomic_add_f32 v6, v203, s[8:9] offset:520          // 00000000FC2C: DD348208 0008CB06
	global_atomic_add_f32 v6, v207, s[8:9] offset:776          // 00000000FC34: DD348308 0008CF06
	s_mov_b64 exec, s[36:37]                                   // 00000000FC3C: BEFE0124
	v_mov_b32_e32 v6, v56                                      // 00000000FC40: 7E0C0338
	s_mov_b64 s[60:61], 0                                      // 00000000FC44: BEBC0180
	v_readlane_b32 s82, v3, 16                                 // 00000000FC48: D2890052 00012103
	s_and_b32 s82, s82, 0xffffff                               // 00000000FC50: 8652FF52 00FFFFFF
	s_cmp_lt_u32 s82, s66                                      // 00000000FC58: BF0A4252
	s_cselect_b32 s20, s36, s60                                // 00000000FC5C: 85143C24
	v_readlane_b32 s82, v3, 17                                 // 00000000FC60: D2890052 00012303
	s_and_b32 s82, s82, 0xffffff                               // 00000000FC68: 8652FF52 00FFFFFF
	s_cmp_lt_u32 s82, s66                                      // 00000000FC70: BF0A4252
	s_cselect_b32 s21, s36, s60                                // 00000000FC74: 85153C24
	s_mov_b64 exec, s[20:21]                                   // 00000000FC78: BEFE0114
	global_atomic_add_f32 v6, v210, s[8:9] offset:8            // 00000000FC7C: DD348008 0008D206
	global_atomic_add_f32 v6, v214, s[8:9] offset:264          // 00000000FC84: DD348108 0008D606
	global_atomic_add_f32 v6, v218, s[8:9] offset:520          // 00000000FC8C: DD348208 0008DA06
	global_atomic_add_f32 v6, v222, s[8:9] offset:776          // 00000000FC94: DD348308 0008DE06
	s_mov_b64 exec, s[36:37]                                   // 00000000FC9C: BEFE0124
	v_mov_b32_e32 v6, v57                                      // 00000000FCA0: 7E0C0339
	s_mov_b64 s[60:61], 0                                      // 00000000FCA4: BEBC0180
	v_readlane_b32 s82, v3, 18                                 // 00000000FCA8: D2890052 00012503
	s_and_b32 s82, s82, 0xffffff                               // 00000000FCB0: 8652FF52 00FFFFFF
	s_cmp_lt_u32 s82, s66                                      // 00000000FCB8: BF0A4252
	s_cselect_b32 s20, s36, s60                                // 00000000FCBC: 85143C24
	v_readlane_b32 s82, v3, 19                                 // 00000000FCC0: D2890052 00012703
	s_and_b32 s82, s82, 0xffffff                               // 00000000FCC8: 8652FF52 00FFFFFF
	s_cmp_lt_u32 s82, s66                                      // 00000000FCD0: BF0A4252
	s_cselect_b32 s21, s36, s60                                // 00000000FCD4: 85153C24
	s_mov_b64 exec, s[20:21]                                   // 00000000FCD8: BEFE0114
	global_atomic_add_f32 v6, v211, s[8:9] offset:8            // 00000000FCDC: DD348008 0008D306
	global_atomic_add_f32 v6, v215, s[8:9] offset:264          // 00000000FCE4: DD348108 0008D706
	global_atomic_add_f32 v6, v219, s[8:9] offset:520          // 00000000FCEC: DD348208 0008DB06
	global_atomic_add_f32 v6, v223, s[8:9] offset:776          // 00000000FCF4: DD348308 0008DF06
	s_mov_b64 exec, s[36:37]                                   // 00000000FCFC: BEFE0124
	s_branch label_34C4                                        // 00000000FD00: BF820000

000000000000fd04 <label_34C4>:
	s_waitcnt vmcnt(0) expcnt(0) lgkmcnt(0)                    // 00000000FD04: BF8C0000
	s_endpgm                                                   // 00000000FD08: BF810000
